;; amdgpu-corpus repo=ROCm/rocFFT kind=compiled arch=gfx950 opt=O3
	.text
	.amdgcn_target "amdgcn-amd-amdhsa--gfx950"
	.amdhsa_code_object_version 6
	.protected	fft_rtc_fwd_len1960_factors_4_7_2_7_5_wgs_56_tpt_56_halfLds_sp_op_CI_CI_unitstride_sbrr_C2R_dirReg ; -- Begin function fft_rtc_fwd_len1960_factors_4_7_2_7_5_wgs_56_tpt_56_halfLds_sp_op_CI_CI_unitstride_sbrr_C2R_dirReg
	.globl	fft_rtc_fwd_len1960_factors_4_7_2_7_5_wgs_56_tpt_56_halfLds_sp_op_CI_CI_unitstride_sbrr_C2R_dirReg
	.p2align	8
	.type	fft_rtc_fwd_len1960_factors_4_7_2_7_5_wgs_56_tpt_56_halfLds_sp_op_CI_CI_unitstride_sbrr_C2R_dirReg,@function
fft_rtc_fwd_len1960_factors_4_7_2_7_5_wgs_56_tpt_56_halfLds_sp_op_CI_CI_unitstride_sbrr_C2R_dirReg: ; @fft_rtc_fwd_len1960_factors_4_7_2_7_5_wgs_56_tpt_56_halfLds_sp_op_CI_CI_unitstride_sbrr_C2R_dirReg
; %bb.0:
	s_load_dwordx4 s[4:7], s[0:1], 0x58
	s_load_dwordx4 s[8:11], s[0:1], 0x0
	;; [unrolled: 1-line block ×3, first 2 shown]
	v_mul_u32_u24_e32 v1, 0x493, v0
	v_add_u32_sdwa v6, s2, v1 dst_sel:DWORD dst_unused:UNUSED_PAD src0_sel:DWORD src1_sel:WORD_1
	v_mov_b32_e32 v4, 0
	s_waitcnt lgkmcnt(0)
	v_cmp_lt_u64_e64 s[2:3], s[10:11], 2
	v_mov_b32_e32 v7, v4
	s_and_b64 vcc, exec, s[2:3]
	v_mov_b64_e32 v[2:3], 0
	s_cbranch_vccnz .LBB0_8
; %bb.1:
	s_load_dwordx2 s[2:3], s[0:1], 0x10
	s_add_u32 s16, s14, 8
	s_addc_u32 s17, s15, 0
	s_add_u32 s18, s12, 8
	s_addc_u32 s19, s13, 0
	s_waitcnt lgkmcnt(0)
	s_add_u32 s20, s2, 8
	v_mov_b64_e32 v[2:3], 0
	s_addc_u32 s21, s3, 0
	s_mov_b64 s[22:23], 1
	v_mov_b64_e32 v[64:65], v[2:3]
.LBB0_2:                                ; =>This Inner Loop Header: Depth=1
	s_load_dwordx2 s[24:25], s[20:21], 0x0
                                        ; implicit-def: $vgpr68_vgpr69
	s_waitcnt lgkmcnt(0)
	v_or_b32_e32 v5, s25, v7
	v_cmp_ne_u64_e32 vcc, 0, v[4:5]
	s_and_saveexec_b64 s[2:3], vcc
	s_xor_b64 s[26:27], exec, s[2:3]
	s_cbranch_execz .LBB0_4
; %bb.3:                                ;   in Loop: Header=BB0_2 Depth=1
	v_cvt_f32_u32_e32 v1, s24
	v_cvt_f32_u32_e32 v5, s25
	s_sub_u32 s2, 0, s24
	s_subb_u32 s3, 0, s25
	v_fmac_f32_e32 v1, 0x4f800000, v5
	v_rcp_f32_e32 v1, v1
	s_nop 0
	v_mul_f32_e32 v1, 0x5f7ffffc, v1
	v_mul_f32_e32 v5, 0x2f800000, v1
	v_trunc_f32_e32 v5, v5
	v_fmac_f32_e32 v1, 0xcf800000, v5
	v_cvt_u32_f32_e32 v5, v5
	v_cvt_u32_f32_e32 v1, v1
	v_mul_lo_u32 v8, s2, v5
	v_mul_hi_u32 v10, s2, v1
	v_mul_lo_u32 v9, s3, v1
	v_add_u32_e32 v10, v10, v8
	v_mul_lo_u32 v12, s2, v1
	v_add_u32_e32 v13, v10, v9
	v_mul_hi_u32 v8, v1, v12
	v_mul_hi_u32 v11, v1, v13
	v_mul_lo_u32 v10, v1, v13
	v_mov_b32_e32 v9, v4
	v_lshl_add_u64 v[8:9], v[8:9], 0, v[10:11]
	v_mul_hi_u32 v11, v5, v12
	v_mul_lo_u32 v12, v5, v12
	v_add_co_u32_e32 v8, vcc, v8, v12
	v_mul_hi_u32 v10, v5, v13
	s_nop 0
	v_addc_co_u32_e32 v8, vcc, v9, v11, vcc
	v_mov_b32_e32 v9, v4
	s_nop 0
	v_addc_co_u32_e32 v11, vcc, 0, v10, vcc
	v_mul_lo_u32 v10, v5, v13
	v_lshl_add_u64 v[8:9], v[8:9], 0, v[10:11]
	v_add_co_u32_e32 v1, vcc, v1, v8
	v_mul_lo_u32 v10, s2, v1
	s_nop 0
	v_addc_co_u32_e32 v5, vcc, v5, v9, vcc
	v_mul_lo_u32 v8, s2, v5
	v_mul_hi_u32 v9, s2, v1
	v_add_u32_e32 v8, v9, v8
	v_mul_lo_u32 v9, s3, v1
	v_add_u32_e32 v12, v8, v9
	v_mul_hi_u32 v14, v5, v10
	v_mul_lo_u32 v15, v5, v10
	v_mul_hi_u32 v9, v1, v12
	v_mul_lo_u32 v8, v1, v12
	v_mul_hi_u32 v10, v1, v10
	v_mov_b32_e32 v11, v4
	v_lshl_add_u64 v[8:9], v[10:11], 0, v[8:9]
	v_add_co_u32_e32 v8, vcc, v8, v15
	v_mul_hi_u32 v13, v5, v12
	s_nop 0
	v_addc_co_u32_e32 v8, vcc, v9, v14, vcc
	v_mul_lo_u32 v10, v5, v12
	s_nop 0
	v_addc_co_u32_e32 v11, vcc, 0, v13, vcc
	v_mov_b32_e32 v9, v4
	v_lshl_add_u64 v[8:9], v[8:9], 0, v[10:11]
	v_add_co_u32_e32 v1, vcc, v1, v8
	v_mul_hi_u32 v10, v6, v1
	s_nop 0
	v_addc_co_u32_e32 v5, vcc, v5, v9, vcc
	v_mad_u64_u32 v[8:9], s[2:3], v6, v5, 0
	v_mov_b32_e32 v11, v4
	v_lshl_add_u64 v[8:9], v[10:11], 0, v[8:9]
	v_mad_u64_u32 v[12:13], s[2:3], v7, v1, 0
	v_add_co_u32_e32 v1, vcc, v8, v12
	v_mad_u64_u32 v[10:11], s[2:3], v7, v5, 0
	s_nop 0
	v_addc_co_u32_e32 v8, vcc, v9, v13, vcc
	v_mov_b32_e32 v9, v4
	s_nop 0
	v_addc_co_u32_e32 v11, vcc, 0, v11, vcc
	v_lshl_add_u64 v[8:9], v[8:9], 0, v[10:11]
	v_mul_lo_u32 v1, s25, v8
	v_mul_lo_u32 v5, s24, v9
	v_mad_u64_u32 v[10:11], s[2:3], s24, v8, 0
	v_add3_u32 v1, v11, v5, v1
	v_sub_u32_e32 v5, v7, v1
	v_mov_b32_e32 v11, s25
	v_sub_co_u32_e32 v14, vcc, v6, v10
	v_lshl_add_u64 v[12:13], v[8:9], 0, 1
	s_nop 0
	v_subb_co_u32_e64 v5, s[2:3], v5, v11, vcc
	v_subrev_co_u32_e64 v10, s[2:3], s24, v14
	v_subb_co_u32_e32 v1, vcc, v7, v1, vcc
	s_nop 0
	v_subbrev_co_u32_e64 v5, s[2:3], 0, v5, s[2:3]
	v_cmp_le_u32_e64 s[2:3], s25, v5
	v_cmp_le_u32_e32 vcc, s25, v1
	s_nop 0
	v_cndmask_b32_e64 v11, 0, -1, s[2:3]
	v_cmp_le_u32_e64 s[2:3], s24, v10
	s_nop 1
	v_cndmask_b32_e64 v10, 0, -1, s[2:3]
	v_cmp_eq_u32_e64 s[2:3], s25, v5
	s_nop 1
	v_cndmask_b32_e64 v5, v11, v10, s[2:3]
	v_lshl_add_u64 v[10:11], v[8:9], 0, 2
	v_cmp_ne_u32_e64 s[2:3], 0, v5
	s_nop 1
	v_cndmask_b32_e64 v5, v13, v11, s[2:3]
	v_cndmask_b32_e64 v11, 0, -1, vcc
	v_cmp_le_u32_e32 vcc, s24, v14
	s_nop 1
	v_cndmask_b32_e64 v13, 0, -1, vcc
	v_cmp_eq_u32_e32 vcc, s25, v1
	s_nop 1
	v_cndmask_b32_e32 v1, v11, v13, vcc
	v_cmp_ne_u32_e32 vcc, 0, v1
	v_cndmask_b32_e64 v1, v12, v10, s[2:3]
	s_nop 0
	v_cndmask_b32_e32 v69, v9, v5, vcc
	v_cndmask_b32_e32 v68, v8, v1, vcc
.LBB0_4:                                ;   in Loop: Header=BB0_2 Depth=1
	s_andn2_saveexec_b64 s[2:3], s[26:27]
	s_cbranch_execz .LBB0_6
; %bb.5:                                ;   in Loop: Header=BB0_2 Depth=1
	v_cvt_f32_u32_e32 v1, s24
	s_sub_i32 s26, 0, s24
	v_mov_b32_e32 v69, v4
	v_rcp_iflag_f32_e32 v1, v1
	s_nop 0
	v_mul_f32_e32 v1, 0x4f7ffffe, v1
	v_cvt_u32_f32_e32 v1, v1
	v_mul_lo_u32 v5, s26, v1
	v_mul_hi_u32 v5, v1, v5
	v_add_u32_e32 v1, v1, v5
	v_mul_hi_u32 v1, v6, v1
	v_mul_lo_u32 v5, v1, s24
	v_sub_u32_e32 v5, v6, v5
	v_add_u32_e32 v8, 1, v1
	v_subrev_u32_e32 v9, s24, v5
	v_cmp_le_u32_e32 vcc, s24, v5
	s_nop 1
	v_cndmask_b32_e32 v5, v5, v9, vcc
	v_cndmask_b32_e32 v1, v1, v8, vcc
	v_add_u32_e32 v8, 1, v1
	v_cmp_le_u32_e32 vcc, s24, v5
	s_nop 1
	v_cndmask_b32_e32 v68, v1, v8, vcc
.LBB0_6:                                ;   in Loop: Header=BB0_2 Depth=1
	s_or_b64 exec, exec, s[2:3]
	v_mad_u64_u32 v[8:9], s[2:3], v68, s24, 0
	s_load_dwordx2 s[2:3], s[18:19], 0x0
	v_mul_lo_u32 v1, v69, s24
	v_mul_lo_u32 v5, v68, s25
	s_load_dwordx2 s[24:25], s[16:17], 0x0
	s_add_u32 s22, s22, 1
	v_add3_u32 v1, v9, v5, v1
	v_sub_co_u32_e32 v5, vcc, v6, v8
	s_addc_u32 s23, s23, 0
	s_nop 0
	v_subb_co_u32_e32 v1, vcc, v7, v1, vcc
	s_add_u32 s16, s16, 8
	s_waitcnt lgkmcnt(0)
	v_mul_lo_u32 v6, s2, v1
	v_mul_lo_u32 v7, s3, v5
	v_mad_u64_u32 v[2:3], s[2:3], s2, v5, v[2:3]
	s_addc_u32 s17, s17, 0
	v_add3_u32 v3, v7, v3, v6
	v_mul_lo_u32 v1, s24, v1
	v_mul_lo_u32 v6, s25, v5
	v_mad_u64_u32 v[64:65], s[2:3], s24, v5, v[64:65]
	s_add_u32 s18, s18, 8
	v_add3_u32 v65, v6, v65, v1
	s_addc_u32 s19, s19, 0
	v_mov_b64_e32 v[6:7], s[10:11]
	s_add_u32 s20, s20, 8
	v_cmp_ge_u64_e32 vcc, s[22:23], v[6:7]
	s_addc_u32 s21, s21, 0
	s_cbranch_vccnz .LBB0_9
; %bb.7:                                ;   in Loop: Header=BB0_2 Depth=1
	v_mov_b64_e32 v[6:7], v[68:69]
	s_branch .LBB0_2
.LBB0_8:
	v_mov_b64_e32 v[64:65], v[2:3]
	v_mov_b64_e32 v[68:69], v[6:7]
.LBB0_9:
	s_load_dwordx2 s[2:3], s[0:1], 0x28
	s_lshl_b64 s[16:17], s[10:11], 3
	s_add_u32 s10, s14, s16
	s_addc_u32 s11, s15, s17
                                        ; implicit-def: $vgpr66
	s_waitcnt lgkmcnt(0)
	v_cmp_gt_u64_e64 s[0:1], s[2:3], v[68:69]
	v_cmp_le_u64_e32 vcc, s[2:3], v[68:69]
	s_and_saveexec_b64 s[2:3], vcc
	s_xor_b64 s[2:3], exec, s[2:3]
; %bb.10:
	s_mov_b32 s14, 0x4924925
	v_mul_hi_u32 v1, v0, s14
	v_mul_u32_u24_e32 v1, 56, v1
	v_sub_u32_e32 v66, v0, v1
                                        ; implicit-def: $vgpr0
                                        ; implicit-def: $vgpr2_vgpr3
; %bb.11:
	s_or_saveexec_b64 s[2:3], s[2:3]
	s_load_dwordx2 s[10:11], s[10:11], 0x0
	s_xor_b64 exec, exec, s[2:3]
	s_cbranch_execz .LBB0_15
; %bb.12:
	s_add_u32 s12, s12, s16
	s_addc_u32 s13, s13, s17
	s_load_dwordx2 s[12:13], s[12:13], 0x0
	s_mov_b32 s14, 0x4924925
	s_waitcnt lgkmcnt(0)
	v_mul_lo_u32 v1, s13, v68
	v_mul_lo_u32 v6, s12, v69
	v_mad_u64_u32 v[4:5], s[12:13], s12, v68, 0
	v_add3_u32 v5, v5, v6, v1
	v_mul_hi_u32 v1, v0, s14
	v_mul_u32_u24_e32 v1, 56, v1
	v_sub_u32_e32 v66, v0, v1
	v_lshl_add_u64 v[0:1], v[4:5], 3, s[4:5]
	v_lshl_add_u64 v[2:3], v[2:3], 3, v[0:1]
	v_lshlrev_b32_e32 v0, 3, v66
	v_mov_b32_e32 v1, 0
	v_lshl_add_u64 v[4:5], v[2:3], 0, v[0:1]
	s_movk_i32 s4, 0x1000
	v_add_co_u32_e32 v26, vcc, s4, v4
	s_movk_i32 s5, 0x2000
	s_nop 0
	v_addc_co_u32_e32 v27, vcc, 0, v5, vcc
	global_load_dwordx2 v[6:7], v[4:5], off
	global_load_dwordx2 v[8:9], v[4:5], off offset:448
	global_load_dwordx2 v[10:11], v[4:5], off offset:896
	;; [unrolled: 1-line block ×7, first 2 shown]
	v_add_co_u32_e32 v28, vcc, s5, v4
	s_movk_i32 s12, 0x3000
	v_mov_b32_e32 v23, v1
	v_or_b32_e32 v22, 0x1c00, v0
	v_addc_co_u32_e32 v29, vcc, 0, v5, vcc
	v_mov_b32_e32 v25, v1
	v_add_u32_e32 v67, 0, v0
	v_or_b32_e32 v24, 0x2a00, v0
	v_lshl_add_u64 v[22:23], v[2:3], 0, v[22:23]
	v_or_b32_e32 v0, 0x3800, v0
	v_add_co_u32_e32 v30, vcc, s12, v4
	v_lshl_add_u64 v[24:25], v[2:3], 0, v[24:25]
	s_nop 0
	v_addc_co_u32_e32 v31, vcc, 0, v5, vcc
	v_lshl_add_u64 v[32:33], v[2:3], 0, v[0:1]
	global_load_dwordx2 v[34:35], v[4:5], off offset:3584
	global_load_dwordx2 v[36:37], v[4:5], off offset:4032
	;; [unrolled: 1-line block ×10, first 2 shown]
	global_load_dwordx2 v[54:55], v[22:23], off
	global_load_dwordx2 v[56:57], v[26:27], off offset:3968
	global_load_dwordx2 v[58:59], v[28:29], off offset:768
	;; [unrolled: 1-line block ×4, first 2 shown]
                                        ; kill: killed $vgpr26 killed $vgpr27
                                        ; kill: killed $vgpr22_vgpr23
                                        ; kill: killed $vgpr4 killed $vgpr5
	global_load_dwordx2 v[4:5], v[28:29], off offset:2112
	global_load_dwordx2 v[22:23], v[28:29], off offset:3008
	;; [unrolled: 1-line block ×3, first 2 shown]
	global_load_dwordx2 v[70:71], v[24:25], off
	global_load_dwordx2 v[72:73], v[28:29], off offset:3904
	global_load_dwordx2 v[74:75], v[30:31], off offset:256
	;; [unrolled: 1-line block ×6, first 2 shown]
	global_load_dwordx2 v[84:85], v[32:33], off
	global_load_dwordx2 v[86:87], v[30:31], off offset:2944
	v_add_u32_e32 v0, 0x400, v67
	v_add_u32_e32 v24, 0x800, v67
	;; [unrolled: 1-line block ×7, first 2 shown]
	v_cmp_eq_u32_e32 vcc, 55, v66
	s_waitcnt vmcnt(33)
	ds_write2_b64 v67, v[6:7], v[8:9] offset1:56
	s_waitcnt vmcnt(31)
	ds_write2_b64 v67, v[10:11], v[12:13] offset0:112 offset1:168
	s_waitcnt vmcnt(29)
	ds_write2_b64 v0, v[14:15], v[16:17] offset0:96 offset1:152
	s_waitcnt vmcnt(27)
	ds_write2_b64 v24, v[18:19], v[20:21] offset0:80 offset1:136
	s_waitcnt vmcnt(25)
	ds_write2_b64 v24, v[34:35], v[36:37] offset0:192 offset1:248
	s_waitcnt vmcnt(23)
	ds_write2_b64 v25, v[38:39], v[40:41] offset0:48 offset1:104
	s_waitcnt vmcnt(21)
	ds_write2_b64 v25, v[42:43], v[44:45] offset0:160 offset1:216
	s_waitcnt vmcnt(19)
	ds_write2_b64 v28, v[46:47], v[48:49] offset0:16 offset1:72
	s_waitcnt vmcnt(16)
	ds_write2_b64 v28, v[54:55], v[50:51] offset0:128 offset1:184
	s_waitcnt vmcnt(15)
	ds_write2_b64 v29, v[56:57], v[52:53] offset0:112 offset1:168
	s_waitcnt vmcnt(13)
	ds_write2_b64 v30, v[58:59], v[60:61] offset0:96 offset1:152
	s_waitcnt vmcnt(11)
	ds_write2_b64 v31, v[62:63], v[4:5] offset0:80 offset1:136
	v_add_u32_e32 v0, 0x2800, v67
	s_waitcnt vmcnt(8)
	ds_write2_b64 v0, v[70:71], v[22:23] offset0:64 offset1:120
	s_waitcnt vmcnt(7)
	ds_write2_b64 v0, v[26:27], v[72:73] offset0:176 offset1:232
	v_add_u32_e32 v0, 0x3000, v67
	s_waitcnt vmcnt(5)
	ds_write2_b64 v0, v[74:75], v[76:77] offset0:32 offset1:88
	s_waitcnt vmcnt(3)
	ds_write2_b64 v0, v[78:79], v[80:81] offset0:144 offset1:200
	v_add_u32_e32 v0, 0x3800, v67
	s_waitcnt vmcnt(1)
	ds_write2_b64 v0, v[84:85], v[82:83] offset1:56
	s_waitcnt vmcnt(0)
	ds_write_b64 v67, v[86:87] offset:15232
	s_and_saveexec_b64 s[4:5], vcc
	s_cbranch_execz .LBB0_14
; %bb.13:
	v_add_co_u32_e32 v2, vcc, 0x3000, v2
	v_mov_b32_e32 v66, 55
	s_nop 0
	v_addc_co_u32_e32 v3, vcc, 0, v3, vcc
	global_load_dwordx2 v[2:3], v[2:3], off offset:3392
	s_waitcnt vmcnt(0)
	ds_write_b64 v1, v[2:3] offset:15680
.LBB0_14:
	s_or_b64 exec, exec, s[4:5]
.LBB0_15:
	s_or_b64 exec, exec, s[2:3]
	v_lshlrev_b32_e32 v0, 3, v66
	v_add_u32_e32 v124, 0, v0
	s_waitcnt lgkmcnt(0)
	; wave barrier
	s_waitcnt lgkmcnt(0)
	v_sub_u32_e32 v4, 0, v0
	ds_read_b32 v0, v124
	ds_read_b32 v1, v4 offset:15680
	s_add_u32 s2, s8, 0x3d20
	s_addc_u32 s3, s9, 0
	v_cmp_ne_u32_e32 vcc, 0, v66
	s_waitcnt lgkmcnt(0)
	v_add_f32_e32 v2, v1, v0
	v_sub_f32_e32 v3, v0, v1
                                        ; implicit-def: $vgpr0_vgpr1
	s_and_saveexec_b64 s[4:5], vcc
	s_xor_b64 s[4:5], exec, s[4:5]
	s_cbranch_execz .LBB0_17
; %bb.16:
	v_mov_b32_e32 v67, 0
	v_lshl_add_u64 v[0:1], v[66:67], 3, s[2:3]
	global_load_dwordx2 v[6:7], v[0:1], off
	ds_read_b32 v5, v4 offset:15684
	ds_read_b32 v11, v124 offset:4
	v_mov_b32_e32 v8, v3
	v_mov_b32_e32 v10, v2
	;; [unrolled: 1-line block ×3, first 2 shown]
	v_mov_b64_e32 v[0:1], v[66:67]
	s_waitcnt lgkmcnt(0)
	v_add_f32_e32 v9, v5, v11
	v_sub_f32_e32 v11, v11, v5
	v_mov_b32_e32 v12, v9
	s_waitcnt vmcnt(0)
	v_pk_mul_f32 v[14:15], v[8:9], v[6:7] op_sel:[0,1]
	v_pk_fma_f32 v[8:9], v[8:9], v[6:7], v[10:11] op_sel:[0,1,0]
	v_mov_b32_e32 v3, v15
	v_mov_b32_e32 v15, v11
	v_pk_fma_f32 v[16:17], v[6:7], v[12:13], v[8:9] neg_lo:[1,0,0] neg_hi:[1,0,0]
	v_pk_fma_f32 v[8:9], v[6:7], v[12:13], v[8:9] op_sel_hi:[0,1,1]
	v_pk_add_f32 v[2:3], v[2:3], v[14:15] neg_lo:[0,1] neg_hi:[0,1]
	v_mov_b32_e32 v17, v9
	v_pk_fma_f32 v[2:3], v[6:7], v[12:13], v[2:3] op_sel_hi:[0,1,1]
	ds_write_b64 v4, v[2:3] offset:15680
	v_mov_b64_e32 v[2:3], v[16:17]
.LBB0_17:
	s_andn2_saveexec_b64 s[4:5], s[4:5]
	s_cbranch_execz .LBB0_19
; %bb.18:
	v_mov_b32_e32 v5, 0
	ds_read_b64 v[0:1], v5 offset:7840
	s_mov_b32 s12, 2.0
	s_mov_b32 s13, -2.0
	s_waitcnt lgkmcnt(0)
	v_pk_mul_f32 v[0:1], v[0:1], s[12:13]
	ds_write_b64 v5, v[0:1] offset:7840
	v_mov_b64_e32 v[0:1], 0
.LBB0_19:
	s_or_b64 exec, exec, s[4:5]
	v_lshl_add_u64 v[0:1], v[0:1], 3, s[2:3]
	global_load_dwordx2 v[6:7], v[0:1], off offset:448
	global_load_dwordx2 v[8:9], v[0:1], off offset:896
	;; [unrolled: 1-line block ×3, first 2 shown]
	v_add_u32_e32 v52, 0xe0, v66
	v_mov_b32_e32 v53, 0
	ds_write_b64 v124, v[2:3]
	v_lshl_add_u64 v[2:3], v[52:53], 3, s[2:3]
	global_load_dwordx2 v[2:3], v[2:3], off
	v_add_u32_e32 v54, 0x118, v66
	v_mov_b32_e32 v55, v53
	v_lshl_add_u64 v[18:19], v[54:55], 3, s[2:3]
	ds_read_b64 v[12:13], v4 offset:15232
	ds_read_b64 v[14:15], v124 offset:448
	global_load_dwordx2 v[16:17], v[0:1], off offset:3584
	v_add_u32_e32 v62, 0x150, v66
	global_load_dwordx2 v[18:19], v[18:19], off
	v_mov_b32_e32 v63, v53
	s_waitcnt lgkmcnt(0)
	v_pk_add_f32 v[20:21], v[14:15], v[12:13]
	v_pk_add_f32 v[12:13], v[14:15], v[12:13] neg_lo:[0,1] neg_hi:[0,1]
	v_mov_b32_e32 v14, v21
	v_mov_b32_e32 v15, v12
	;; [unrolled: 1-line block ×3, first 2 shown]
	v_add_u32_e32 v56, 0x188, v66
	v_mov_b32_e32 v57, v53
	v_lshl_add_u32 v126, v52, 3, 0
	v_lshl_add_u32 v125, v54, 3, 0
	;; [unrolled: 1-line block ×3, first 2 shown]
	v_add_u32_e32 v58, 0x230, v66
	v_mov_b32_e32 v59, v53
	v_lshl_add_u32 v127, v56, 3, 0
	v_add_u32_e32 v60, 0x268, v66
	v_mov_b32_e32 v61, v53
	v_add_u32_e32 v70, 0x2a0, v66
	v_mov_b32_e32 v71, v53
	;; [unrolled: 2-line block ×4, first 2 shown]
	v_lshl_add_u32 v55, v60, 3, 0
	v_add_u32_e32 v74, 0x348, v66
	v_mov_b32_e32 v75, v53
	v_or_b32_e32 v78, 0x380, v66
	v_mov_b32_e32 v79, v53
	v_lshl_add_u32 v128, v76, 3, 0
	v_lshl_add_u32 v53, v74, 3, 0
	s_waitcnt vmcnt(5)
	v_pk_mul_f32 v[22:23], v[14:15], v[6:7] op_sel:[0,1]
	s_nop 0
	v_pk_add_f32 v[24:25], v[20:21], v[22:23] op_sel:[0,1] op_sel_hi:[1,0]
	v_mov_b32_e32 v21, v22
	v_mov_b32_e32 v12, v23
	v_pk_fma_f32 v[22:23], v[6:7], v[14:15], v[24:25] neg_lo:[1,0,0] neg_hi:[1,0,0]
	v_pk_fma_f32 v[24:25], v[6:7], v[14:15], v[24:25] op_sel_hi:[0,1,1]
	v_pk_add_f32 v[12:13], v[20:21], v[12:13] neg_lo:[0,1] neg_hi:[0,1]
	v_mov_b32_e32 v23, v25
	v_pk_fma_f32 v[6:7], v[6:7], v[14:15], v[12:13] op_sel_hi:[0,1,1]
	ds_write_b64 v124, v[22:23] offset:448
	ds_write_b64 v4, v[6:7] offset:15232
	v_lshl_add_u64 v[14:15], v[62:63], 3, s[2:3]
	ds_read_b64 v[6:7], v4 offset:14784
	ds_read_b64 v[12:13], v124 offset:896
	global_load_dwordx2 v[14:15], v[14:15], off
	v_lshl_add_u32 v63, v58, 3, 0
	s_waitcnt lgkmcnt(0)
	v_pk_add_f32 v[20:21], v[12:13], v[6:7]
	v_pk_add_f32 v[6:7], v[12:13], v[6:7] neg_lo:[0,1] neg_hi:[0,1]
	v_mov_b32_e32 v12, v21
	v_mov_b32_e32 v13, v6
	;; [unrolled: 1-line block ×3, first 2 shown]
	s_waitcnt vmcnt(5)
	v_pk_mul_f32 v[22:23], v[12:13], v[8:9] op_sel:[0,1]
	s_nop 0
	v_pk_add_f32 v[24:25], v[20:21], v[22:23] op_sel:[0,1] op_sel_hi:[1,0]
	v_mov_b32_e32 v21, v22
	v_mov_b32_e32 v6, v23
	v_pk_fma_f32 v[22:23], v[8:9], v[12:13], v[24:25] neg_lo:[1,0,0] neg_hi:[1,0,0]
	v_pk_fma_f32 v[24:25], v[8:9], v[12:13], v[24:25] op_sel_hi:[0,1,1]
	v_pk_add_f32 v[6:7], v[20:21], v[6:7] neg_lo:[0,1] neg_hi:[0,1]
	v_mov_b32_e32 v23, v25
	v_pk_fma_f32 v[6:7], v[8:9], v[12:13], v[6:7] op_sel_hi:[0,1,1]
	ds_write_b64 v124, v[22:23] offset:896
	ds_write_b64 v4, v[6:7] offset:14784
	v_lshl_add_u64 v[12:13], v[56:57], 3, s[2:3]
	ds_read_b64 v[6:7], v4 offset:14336
	ds_read_b64 v[8:9], v124 offset:1344
	global_load_dwordx2 v[12:13], v[12:13], off
	v_lshl_add_u32 v57, v70, 3, 0
	s_waitcnt lgkmcnt(0)
	v_pk_add_f32 v[20:21], v[8:9], v[6:7]
	v_pk_add_f32 v[6:7], v[8:9], v[6:7] neg_lo:[0,1] neg_hi:[0,1]
	v_mov_b32_e32 v8, v21
	v_mov_b32_e32 v9, v6
	;; [unrolled: 1-line block ×3, first 2 shown]
	s_waitcnt vmcnt(5)
	v_pk_mul_f32 v[22:23], v[8:9], v[10:11] op_sel:[0,1]
	s_nop 0
	v_pk_add_f32 v[24:25], v[20:21], v[22:23] op_sel:[0,1] op_sel_hi:[1,0]
	v_mov_b32_e32 v21, v22
	v_mov_b32_e32 v6, v23
	v_pk_fma_f32 v[22:23], v[10:11], v[8:9], v[24:25] neg_lo:[1,0,0] neg_hi:[1,0,0]
	v_pk_fma_f32 v[24:25], v[10:11], v[8:9], v[24:25] op_sel_hi:[0,1,1]
	v_pk_add_f32 v[6:7], v[20:21], v[6:7] neg_lo:[0,1] neg_hi:[0,1]
	v_mov_b32_e32 v23, v25
	v_pk_fma_f32 v[6:7], v[10:11], v[8:9], v[6:7] op_sel_hi:[0,1,1]
	ds_write_b64 v124, v[22:23] offset:1344
	ds_write_b64 v4, v[6:7] offset:14336
	ds_read_b64 v[6:7], v4 offset:13888
	ds_read_b64 v[8:9], v126
	s_waitcnt lgkmcnt(0)
	v_pk_add_f32 v[10:11], v[8:9], v[6:7]
	v_pk_add_f32 v[6:7], v[8:9], v[6:7] neg_lo:[0,1] neg_hi:[0,1]
	v_mov_b32_e32 v8, v11
	v_mov_b32_e32 v9, v6
	;; [unrolled: 1-line block ×3, first 2 shown]
	s_waitcnt vmcnt(4)
	v_pk_mul_f32 v[20:21], v[8:9], v[2:3] op_sel:[0,1]
	s_nop 0
	v_pk_add_f32 v[22:23], v[10:11], v[20:21] op_sel:[0,1] op_sel_hi:[1,0]
	v_mov_b32_e32 v11, v20
	v_mov_b32_e32 v6, v21
	v_pk_fma_f32 v[20:21], v[2:3], v[8:9], v[22:23] neg_lo:[1,0,0] neg_hi:[1,0,0]
	v_pk_fma_f32 v[22:23], v[2:3], v[8:9], v[22:23] op_sel_hi:[0,1,1]
	v_pk_add_f32 v[6:7], v[10:11], v[6:7] neg_lo:[0,1] neg_hi:[0,1]
	v_mov_b32_e32 v21, v23
	v_pk_fma_f32 v[2:3], v[2:3], v[8:9], v[6:7] op_sel_hi:[0,1,1]
	ds_write_b64 v126, v[20:21]
	ds_write_b64 v4, v[2:3] offset:13888
	ds_read_b64 v[2:3], v4 offset:13440
	ds_read_b64 v[6:7], v125
	s_waitcnt lgkmcnt(0)
	v_pk_add_f32 v[8:9], v[6:7], v[2:3]
	v_pk_add_f32 v[2:3], v[6:7], v[2:3] neg_lo:[0,1] neg_hi:[0,1]
	v_mov_b32_e32 v6, v9
	v_mov_b32_e32 v7, v2
	;; [unrolled: 1-line block ×3, first 2 shown]
	s_waitcnt vmcnt(2)
	v_pk_mul_f32 v[10:11], v[6:7], v[18:19] op_sel:[0,1]
	s_nop 0
	v_pk_add_f32 v[20:21], v[8:9], v[10:11] op_sel:[0,1] op_sel_hi:[1,0]
	v_mov_b32_e32 v9, v10
	v_mov_b32_e32 v2, v11
	v_pk_fma_f32 v[10:11], v[18:19], v[6:7], v[20:21] neg_lo:[1,0,0] neg_hi:[1,0,0]
	v_pk_fma_f32 v[20:21], v[18:19], v[6:7], v[20:21] op_sel_hi:[0,1,1]
	v_pk_add_f32 v[2:3], v[8:9], v[2:3] neg_lo:[0,1] neg_hi:[0,1]
	v_mov_b32_e32 v11, v21
	v_pk_fma_f32 v[2:3], v[18:19], v[6:7], v[2:3] op_sel_hi:[0,1,1]
	ds_write_b64 v125, v[10:11]
	ds_write_b64 v4, v[2:3] offset:13440
	ds_read_b64 v[2:3], v4 offset:12992
	ds_read_b64 v[6:7], v67
	global_load_dwordx2 v[8:9], v[0:1], off offset:4032
	s_waitcnt lgkmcnt(0)
	v_pk_add_f32 v[10:11], v[6:7], v[2:3]
	v_pk_add_f32 v[2:3], v[6:7], v[2:3] neg_lo:[0,1] neg_hi:[0,1]
	v_mov_b32_e32 v6, v11
	v_mov_b32_e32 v7, v2
	;; [unrolled: 1-line block ×3, first 2 shown]
	s_waitcnt vmcnt(2)
	v_pk_mul_f32 v[18:19], v[6:7], v[14:15] op_sel:[0,1]
	s_nop 0
	v_pk_add_f32 v[20:21], v[10:11], v[18:19] op_sel:[0,1] op_sel_hi:[1,0]
	v_mov_b32_e32 v11, v18
	v_mov_b32_e32 v2, v19
	v_pk_fma_f32 v[18:19], v[14:15], v[6:7], v[20:21] neg_lo:[1,0,0] neg_hi:[1,0,0]
	v_pk_fma_f32 v[20:21], v[14:15], v[6:7], v[20:21] op_sel_hi:[0,1,1]
	v_pk_add_f32 v[2:3], v[10:11], v[2:3] neg_lo:[0,1] neg_hi:[0,1]
	v_mov_b32_e32 v19, v21
	v_pk_fma_f32 v[2:3], v[14:15], v[6:7], v[2:3] op_sel_hi:[0,1,1]
	ds_write_b64 v67, v[18:19]
	ds_write_b64 v4, v[2:3] offset:12992
	v_lshl_add_u64 v[10:11], v[58:59], 3, s[2:3]
	ds_read_b64 v[2:3], v4 offset:12544
	ds_read_b64 v[6:7], v127
	global_load_dwordx2 v[10:11], v[10:11], off
	s_waitcnt lgkmcnt(0)
	v_pk_add_f32 v[14:15], v[6:7], v[2:3]
	v_pk_add_f32 v[2:3], v[6:7], v[2:3] neg_lo:[0,1] neg_hi:[0,1]
	v_mov_b32_e32 v6, v15
	v_mov_b32_e32 v7, v2
	;; [unrolled: 1-line block ×3, first 2 shown]
	s_waitcnt vmcnt(2)
	v_pk_mul_f32 v[18:19], v[6:7], v[12:13] op_sel:[0,1]
	s_nop 0
	v_pk_add_f32 v[20:21], v[14:15], v[18:19] op_sel:[0,1] op_sel_hi:[1,0]
	v_mov_b32_e32 v15, v18
	v_mov_b32_e32 v2, v19
	v_pk_fma_f32 v[18:19], v[12:13], v[6:7], v[20:21] neg_lo:[1,0,0] neg_hi:[1,0,0]
	v_pk_fma_f32 v[20:21], v[12:13], v[6:7], v[20:21] op_sel_hi:[0,1,1]
	v_pk_add_f32 v[2:3], v[14:15], v[2:3] neg_lo:[0,1] neg_hi:[0,1]
	v_mov_b32_e32 v19, v21
	v_pk_fma_f32 v[2:3], v[12:13], v[6:7], v[2:3] op_sel_hi:[0,1,1]
	ds_write_b64 v127, v[18:19]
	ds_write_b64 v4, v[2:3] offset:12544
	v_lshl_add_u64 v[12:13], v[60:61], 3, s[2:3]
	ds_read_b64 v[2:3], v4 offset:12096
	ds_read_b64 v[6:7], v124 offset:3584
	global_load_dwordx2 v[12:13], v[12:13], off
	s_waitcnt lgkmcnt(0)
	v_pk_add_f32 v[14:15], v[6:7], v[2:3]
	v_pk_add_f32 v[2:3], v[6:7], v[2:3] neg_lo:[0,1] neg_hi:[0,1]
	v_mov_b32_e32 v6, v15
	v_mov_b32_e32 v7, v2
	;; [unrolled: 1-line block ×3, first 2 shown]
	v_pk_mul_f32 v[18:19], v[6:7], v[16:17] op_sel:[0,1]
	s_nop 0
	v_pk_add_f32 v[20:21], v[14:15], v[18:19] op_sel:[0,1] op_sel_hi:[1,0]
	v_mov_b32_e32 v15, v18
	v_mov_b32_e32 v2, v19
	v_pk_fma_f32 v[22:23], v[16:17], v[6:7], v[20:21] neg_lo:[1,0,0] neg_hi:[1,0,0]
	v_pk_fma_f32 v[20:21], v[16:17], v[6:7], v[20:21] op_sel_hi:[0,1,1]
	v_pk_add_f32 v[2:3], v[14:15], v[2:3] neg_lo:[0,1] neg_hi:[0,1]
	v_mov_b32_e32 v23, v21
	v_pk_fma_f32 v[2:3], v[16:17], v[6:7], v[2:3] op_sel_hi:[0,1,1]
	ds_write_b64 v124, v[22:23] offset:3584
	ds_write_b64 v4, v[2:3] offset:12096
	v_lshl_add_u64 v[14:15], v[70:71], 3, s[2:3]
	ds_read_b64 v[2:3], v4 offset:11648
	ds_read_b64 v[6:7], v124 offset:4032
	global_load_dwordx2 v[14:15], v[14:15], off
	v_lshl_add_u32 v71, v72, 3, 0
	s_waitcnt lgkmcnt(0)
	v_pk_add_f32 v[16:17], v[6:7], v[2:3]
	v_pk_add_f32 v[2:3], v[6:7], v[2:3] neg_lo:[0,1] neg_hi:[0,1]
	v_mov_b32_e32 v6, v17
	v_mov_b32_e32 v7, v2
	;; [unrolled: 1-line block ×3, first 2 shown]
	s_waitcnt vmcnt(3)
	v_pk_mul_f32 v[18:19], v[6:7], v[8:9] op_sel:[0,1]
	s_nop 0
	v_pk_add_f32 v[20:21], v[16:17], v[18:19] op_sel:[0,1] op_sel_hi:[1,0]
	v_mov_b32_e32 v17, v18
	v_mov_b32_e32 v2, v19
	v_pk_fma_f32 v[22:23], v[8:9], v[6:7], v[20:21] neg_lo:[1,0,0] neg_hi:[1,0,0]
	v_pk_fma_f32 v[20:21], v[8:9], v[6:7], v[20:21] op_sel_hi:[0,1,1]
	v_pk_add_f32 v[2:3], v[16:17], v[2:3] neg_lo:[0,1] neg_hi:[0,1]
	v_mov_b32_e32 v23, v21
	v_pk_fma_f32 v[2:3], v[8:9], v[6:7], v[2:3] op_sel_hi:[0,1,1]
	ds_write_b64 v124, v[22:23] offset:4032
	ds_write_b64 v4, v[2:3] offset:11648
	v_lshl_add_u64 v[8:9], v[72:73], 3, s[2:3]
	ds_read_b64 v[2:3], v4 offset:11200
	ds_read_b64 v[6:7], v63
	global_load_dwordx2 v[8:9], v[8:9], off
	s_waitcnt lgkmcnt(0)
	v_pk_add_f32 v[16:17], v[6:7], v[2:3]
	v_pk_add_f32 v[2:3], v[6:7], v[2:3] neg_lo:[0,1] neg_hi:[0,1]
	v_mov_b32_e32 v6, v17
	v_mov_b32_e32 v7, v2
	v_mov_b32_e32 v17, v3
	s_waitcnt vmcnt(3)
	v_pk_mul_f32 v[18:19], v[6:7], v[10:11] op_sel:[0,1]
	s_nop 0
	v_pk_add_f32 v[20:21], v[16:17], v[18:19] op_sel:[0,1] op_sel_hi:[1,0]
	v_mov_b32_e32 v17, v18
	v_mov_b32_e32 v2, v19
	v_pk_fma_f32 v[22:23], v[10:11], v[6:7], v[20:21] neg_lo:[1,0,0] neg_hi:[1,0,0]
	v_pk_fma_f32 v[20:21], v[10:11], v[6:7], v[20:21] op_sel_hi:[0,1,1]
	v_pk_add_f32 v[2:3], v[16:17], v[2:3] neg_lo:[0,1] neg_hi:[0,1]
	v_mov_b32_e32 v23, v21
	v_pk_fma_f32 v[2:3], v[10:11], v[6:7], v[2:3] op_sel_hi:[0,1,1]
	ds_write_b64 v63, v[22:23]
	ds_write_b64 v4, v[2:3] offset:11200
	v_lshl_add_u64 v[10:11], v[76:77], 3, s[2:3]
	ds_read_b64 v[2:3], v4 offset:10752
	ds_read_b64 v[6:7], v55
	global_load_dwordx2 v[10:11], v[10:11], off
	s_waitcnt lgkmcnt(0)
	v_pk_add_f32 v[16:17], v[6:7], v[2:3]
	v_pk_add_f32 v[2:3], v[6:7], v[2:3] neg_lo:[0,1] neg_hi:[0,1]
	v_mov_b32_e32 v6, v17
	v_mov_b32_e32 v7, v2
	v_mov_b32_e32 v17, v3
	s_waitcnt vmcnt(3)
	v_pk_mul_f32 v[18:19], v[6:7], v[12:13] op_sel:[0,1]
	s_nop 0
	v_pk_add_f32 v[20:21], v[16:17], v[18:19] op_sel:[0,1] op_sel_hi:[1,0]
	v_mov_b32_e32 v17, v18
	v_mov_b32_e32 v2, v19
	v_pk_fma_f32 v[22:23], v[12:13], v[6:7], v[20:21] neg_lo:[1,0,0] neg_hi:[1,0,0]
	v_pk_fma_f32 v[20:21], v[12:13], v[6:7], v[20:21] op_sel_hi:[0,1,1]
	v_pk_add_f32 v[2:3], v[16:17], v[2:3] neg_lo:[0,1] neg_hi:[0,1]
	v_mov_b32_e32 v23, v21
	v_pk_fma_f32 v[2:3], v[12:13], v[6:7], v[2:3] op_sel_hi:[0,1,1]
	ds_write_b64 v55, v[22:23]
	;; [unrolled: 23-line block ×3, first 2 shown]
	ds_write_b64 v4, v[2:3] offset:10304
	v_lshl_add_u64 v[2:3], v[78:79], 3, s[2:3]
	global_load_dwordx2 v[2:3], v[2:3], off
	ds_read_b64 v[6:7], v4 offset:9856
	ds_read_b64 v[14:15], v71
	v_cmp_gt_u32_e64 s[2:3], 28, v66
	s_waitcnt lgkmcnt(0)
	v_pk_add_f32 v[16:17], v[14:15], v[6:7]
	v_pk_add_f32 v[6:7], v[14:15], v[6:7] neg_lo:[0,1] neg_hi:[0,1]
	v_mov_b32_e32 v14, v17
	v_mov_b32_e32 v15, v6
	;; [unrolled: 1-line block ×3, first 2 shown]
	s_waitcnt vmcnt(3)
	v_pk_mul_f32 v[18:19], v[14:15], v[8:9] op_sel:[0,1]
	s_nop 0
	v_pk_add_f32 v[20:21], v[16:17], v[18:19] op_sel:[0,1] op_sel_hi:[1,0]
	v_mov_b32_e32 v17, v18
	v_mov_b32_e32 v6, v19
	v_pk_fma_f32 v[22:23], v[8:9], v[14:15], v[20:21] neg_lo:[1,0,0] neg_hi:[1,0,0]
	v_pk_fma_f32 v[20:21], v[8:9], v[14:15], v[20:21] op_sel_hi:[0,1,1]
	v_pk_add_f32 v[6:7], v[16:17], v[6:7] neg_lo:[0,1] neg_hi:[0,1]
	v_mov_b32_e32 v23, v21
	v_pk_fma_f32 v[6:7], v[8:9], v[14:15], v[6:7] op_sel_hi:[0,1,1]
	ds_write_b64 v71, v[22:23]
	ds_write_b64 v4, v[6:7] offset:9856
	ds_read_b64 v[6:7], v4 offset:9408
	ds_read_b64 v[8:9], v128
	s_waitcnt lgkmcnt(0)
	v_pk_add_f32 v[14:15], v[8:9], v[6:7]
	v_pk_add_f32 v[6:7], v[8:9], v[6:7] neg_lo:[0,1] neg_hi:[0,1]
	v_mov_b32_e32 v8, v15
	v_mov_b32_e32 v9, v6
	;; [unrolled: 1-line block ×3, first 2 shown]
	s_waitcnt vmcnt(2)
	v_pk_mul_f32 v[16:17], v[8:9], v[10:11] op_sel:[0,1]
	s_nop 0
	v_pk_add_f32 v[18:19], v[14:15], v[16:17] op_sel:[0,1] op_sel_hi:[1,0]
	v_mov_b32_e32 v15, v16
	v_mov_b32_e32 v6, v17
	v_pk_fma_f32 v[20:21], v[10:11], v[8:9], v[18:19] neg_lo:[1,0,0] neg_hi:[1,0,0]
	v_pk_fma_f32 v[18:19], v[10:11], v[8:9], v[18:19] op_sel_hi:[0,1,1]
	v_pk_add_f32 v[6:7], v[14:15], v[6:7] neg_lo:[0,1] neg_hi:[0,1]
	v_mov_b32_e32 v21, v19
	v_pk_fma_f32 v[6:7], v[10:11], v[8:9], v[6:7] op_sel_hi:[0,1,1]
	ds_write_b64 v128, v[20:21]
	ds_write_b64 v4, v[6:7] offset:9408
	ds_read_b64 v[6:7], v4 offset:8960
	ds_read_b64 v[8:9], v53
	s_waitcnt lgkmcnt(0)
	v_pk_add_f32 v[10:11], v[8:9], v[6:7]
	v_pk_add_f32 v[6:7], v[8:9], v[6:7] neg_lo:[0,1] neg_hi:[0,1]
	v_mov_b32_e32 v8, v11
	v_mov_b32_e32 v9, v6
	;; [unrolled: 1-line block ×3, first 2 shown]
	s_waitcnt vmcnt(1)
	v_pk_mul_f32 v[14:15], v[8:9], v[12:13] op_sel:[0,1]
	s_nop 0
	v_pk_add_f32 v[16:17], v[10:11], v[14:15] op_sel:[0,1] op_sel_hi:[1,0]
	v_mov_b32_e32 v11, v14
	v_mov_b32_e32 v6, v15
	v_pk_fma_f32 v[18:19], v[12:13], v[8:9], v[16:17] neg_lo:[1,0,0] neg_hi:[1,0,0]
	v_pk_fma_f32 v[16:17], v[12:13], v[8:9], v[16:17] op_sel_hi:[0,1,1]
	v_pk_add_f32 v[6:7], v[10:11], v[6:7] neg_lo:[0,1] neg_hi:[0,1]
	v_mov_b32_e32 v19, v17
	v_pk_fma_f32 v[6:7], v[12:13], v[8:9], v[6:7] op_sel_hi:[0,1,1]
	ds_write_b64 v53, v[18:19]
	ds_write_b64 v4, v[6:7] offset:8960
	ds_read_b64 v[6:7], v4 offset:8512
	ds_read_b64 v[8:9], v124 offset:7168
	s_waitcnt lgkmcnt(0)
	v_pk_add_f32 v[10:11], v[8:9], v[6:7]
	v_pk_add_f32 v[6:7], v[8:9], v[6:7] neg_lo:[0,1] neg_hi:[0,1]
	v_mov_b32_e32 v8, v11
	v_mov_b32_e32 v9, v6
	;; [unrolled: 1-line block ×3, first 2 shown]
	s_waitcnt vmcnt(0)
	v_pk_mul_f32 v[12:13], v[8:9], v[2:3] op_sel:[0,1]
	s_nop 0
	v_pk_add_f32 v[14:15], v[10:11], v[12:13] op_sel:[0,1] op_sel_hi:[1,0]
	v_mov_b32_e32 v11, v12
	v_mov_b32_e32 v6, v13
	v_pk_fma_f32 v[16:17], v[2:3], v[8:9], v[14:15] neg_lo:[1,0,0] neg_hi:[1,0,0]
	v_pk_fma_f32 v[14:15], v[2:3], v[8:9], v[14:15] op_sel_hi:[0,1,1]
	v_pk_add_f32 v[6:7], v[10:11], v[6:7] neg_lo:[0,1] neg_hi:[0,1]
	v_mov_b32_e32 v17, v15
	v_pk_fma_f32 v[2:3], v[2:3], v[8:9], v[6:7] op_sel_hi:[0,1,1]
	ds_write_b64 v124, v[16:17] offset:7168
	ds_write_b64 v4, v[2:3] offset:8512
	s_and_saveexec_b64 s[4:5], s[2:3]
	s_cbranch_execz .LBB0_21
; %bb.20:
	v_add_co_u32_e32 v0, vcc, 0x1000, v0
	s_nop 1
	v_addc_co_u32_e32 v1, vcc, 0, v1, vcc
	global_load_dwordx2 v[0:1], v[0:1], off offset:3520
	ds_read_b64 v[2:3], v4 offset:8064
	ds_read_b64 v[6:7], v124 offset:7616
	s_waitcnt lgkmcnt(0)
	v_pk_add_f32 v[8:9], v[6:7], v[2:3]
	v_pk_add_f32 v[2:3], v[6:7], v[2:3] neg_lo:[0,1] neg_hi:[0,1]
	v_mov_b32_e32 v6, v9
	v_mov_b32_e32 v7, v2
	;; [unrolled: 1-line block ×3, first 2 shown]
	s_waitcnt vmcnt(0)
	v_pk_mul_f32 v[10:11], v[6:7], v[0:1] op_sel:[0,1]
	s_nop 0
	v_pk_add_f32 v[12:13], v[8:9], v[10:11] op_sel:[0,1] op_sel_hi:[1,0]
	v_mov_b32_e32 v9, v10
	v_mov_b32_e32 v2, v11
	v_pk_fma_f32 v[10:11], v[0:1], v[6:7], v[12:13] neg_lo:[1,0,0] neg_hi:[1,0,0]
	v_pk_fma_f32 v[12:13], v[0:1], v[6:7], v[12:13] op_sel_hi:[0,1,1]
	v_pk_add_f32 v[2:3], v[8:9], v[2:3] neg_lo:[0,1] neg_hi:[0,1]
	v_mov_b32_e32 v11, v13
	v_pk_fma_f32 v[0:1], v[0:1], v[6:7], v[2:3] op_sel_hi:[0,1,1]
	ds_write_b64 v124, v[10:11] offset:7616
	ds_write_b64 v4, v[0:1] offset:8064
.LBB0_21:
	s_or_b64 exec, exec, s[4:5]
	v_add_u32_e32 v75, 0x800, v124
	v_add_u32_e32 v79, 0x1800, v124
	;; [unrolled: 1-line block ×6, first 2 shown]
	s_waitcnt lgkmcnt(0)
	; wave barrier
	s_waitcnt lgkmcnt(0)
	s_waitcnt lgkmcnt(0)
	; wave barrier
	s_waitcnt lgkmcnt(0)
	ds_read2_b64 v[0:3], v75 offset0:192 offset1:234
	ds_read2_b64 v[4:7], v79 offset0:114 offset1:170
	;; [unrolled: 1-line block ×5, first 2 shown]
	ds_read2_b64 v[22:25], v124 offset1:56
	ds_read2_b64 v[26:29], v20 offset0:84 offset1:140
	v_add_u32_e32 v30, 0x400, v124
	s_waitcnt lgkmcnt(4)
	v_pk_add_f32 v[14:15], v[2:3], v[14:15] neg_lo:[0,1] neg_hi:[0,1]
	v_add_u32_e32 v130, 0x2000, v124
	v_add_u32_e32 v21, 0x1000, v124
	s_waitcnt lgkmcnt(0)
	v_pk_add_f32 v[26:27], v[22:23], v[26:27] neg_lo:[0,1] neg_hi:[0,1]
	v_add_u32_e32 v129, 0x3000, v124
	v_pk_fma_f32 v[22:23], v[22:23], 2.0, v[26:27] op_sel_hi:[1,0,1] neg_lo:[0,0,1] neg_hi:[0,0,1]
	v_pk_fma_f32 v[2:3], v[2:3], 2.0, v[14:15] op_sel_hi:[1,0,1] neg_lo:[0,0,1] neg_hi:[0,0,1]
	v_pk_add_f32 v[50:51], v[26:27], v[14:15] op_sel:[0,1] op_sel_hi:[1,0] neg_lo:[0,1] neg_hi:[0,1]
	v_pk_add_f32 v[14:15], v[26:27], v[14:15] op_sel:[0,1] op_sel_hi:[1,0]
	v_add_u32_e32 v131, 0x2c00, v124
	ds_read2_b64 v[30:33], v30 offset0:96 offset1:152
	ds_read2_b64 v[34:37], v75 offset0:80 offset1:136
	;; [unrolled: 1-line block ×11, first 2 shown]
	v_pk_add_f32 v[2:3], v[22:23], v[2:3] neg_lo:[0,1] neg_hi:[0,1]
	v_mov_b32_e32 v51, v15
	v_pk_fma_f32 v[22:23], v[22:23], 2.0, v[2:3] op_sel_hi:[1,0,1] neg_lo:[0,0,1] neg_hi:[0,0,1]
	v_pk_fma_f32 v[26:27], v[26:27], 2.0, v[50:51] op_sel_hi:[1,0,1] neg_lo:[0,0,1] neg_hi:[0,0,1]
	v_lshl_add_u32 v14, v66, 5, 0
	s_waitcnt lgkmcnt(0)
	; wave barrier
	s_waitcnt lgkmcnt(0)
	ds_write2_b64 v14, v[22:23], v[26:27] offset1:1
	ds_write2_b64 v14, v[2:3], v[50:51] offset0:2 offset1:3
	v_pk_add_f32 v[2:3], v[24:25], v[28:29] neg_lo:[0,1] neg_hi:[0,1]
	v_pk_add_f32 v[22:23], v[88:89], v[92:93] neg_lo:[0,1] neg_hi:[0,1]
	v_pk_fma_f32 v[14:15], v[24:25], 2.0, v[2:3] op_sel_hi:[1,0,1] neg_lo:[0,0,1] neg_hi:[0,0,1]
	v_pk_fma_f32 v[24:25], v[88:89], 2.0, v[22:23] op_sel_hi:[1,0,1] neg_lo:[0,0,1] neg_hi:[0,0,1]
	v_pk_add_f32 v[26:27], v[2:3], v[22:23] op_sel:[0,1] op_sel_hi:[1,0] neg_lo:[0,1] neg_hi:[0,1]
	v_pk_add_f32 v[22:23], v[2:3], v[22:23] op_sel:[0,1] op_sel_hi:[1,0]
	v_pk_add_f32 v[24:25], v[14:15], v[24:25] neg_lo:[0,1] neg_hi:[0,1]
	v_mov_b32_e32 v27, v23
	v_add_u32_e32 v132, 56, v66
	v_pk_fma_f32 v[14:15], v[14:15], 2.0, v[24:25] op_sel_hi:[1,0,1] neg_lo:[0,0,1] neg_hi:[0,0,1]
	v_pk_fma_f32 v[2:3], v[2:3], 2.0, v[26:27] op_sel_hi:[1,0,1] neg_lo:[0,0,1] neg_hi:[0,0,1]
	v_lshl_add_u32 v22, v132, 5, 0
	ds_write2_b64 v22, v[14:15], v[2:3] offset1:1
	ds_write2_b64 v22, v[24:25], v[26:27] offset0:2 offset1:3
	v_pk_add_f32 v[2:3], v[90:91], v[94:95] neg_lo:[0,1] neg_hi:[0,1]
	v_pk_add_f32 v[22:23], v[96:97], v[100:101] neg_lo:[0,1] neg_hi:[0,1]
	v_pk_fma_f32 v[14:15], v[90:91], 2.0, v[2:3] op_sel_hi:[1,0,1] neg_lo:[0,0,1] neg_hi:[0,0,1]
	v_pk_fma_f32 v[24:25], v[96:97], 2.0, v[22:23] op_sel_hi:[1,0,1] neg_lo:[0,0,1] neg_hi:[0,0,1]
	v_pk_add_f32 v[26:27], v[22:23], v[2:3] op_sel:[0,1] op_sel_hi:[1,0] neg_lo:[0,1] neg_hi:[0,1]
	v_pk_add_f32 v[2:3], v[22:23], v[2:3] op_sel:[0,1] op_sel_hi:[1,0]
	v_pk_add_f32 v[14:15], v[24:25], v[14:15] neg_lo:[0,1] neg_hi:[0,1]
	v_mov_b32_e32 v27, v3
	v_add_u32_e32 v59, 0x70, v66
	v_pk_fma_f32 v[24:25], v[24:25], 2.0, v[14:15] op_sel_hi:[1,0,1] neg_lo:[0,0,1] neg_hi:[0,0,1]
	v_pk_fma_f32 v[22:23], v[22:23], 2.0, v[26:27] op_sel_hi:[1,0,1] neg_lo:[0,0,1] neg_hi:[0,0,1]
	v_lshl_add_u32 v2, v59, 5, 0
	;; [unrolled: 14-line block ×3, first 2 shown]
	ds_write2_b64 v22, v[14:15], v[2:3] offset1:1
	ds_write2_b64 v22, v[24:25], v[26:27] offset0:2 offset1:3
	v_pk_add_f32 v[2:3], v[82:83], v[86:87] neg_lo:[0,1] neg_hi:[0,1]
	v_pk_add_f32 v[22:23], v[30:31], v[46:47] neg_lo:[0,1] neg_hi:[0,1]
	v_pk_fma_f32 v[14:15], v[82:83], 2.0, v[2:3] op_sel_hi:[1,0,1] neg_lo:[0,0,1] neg_hi:[0,0,1]
	v_pk_fma_f32 v[24:25], v[30:31], 2.0, v[22:23] op_sel_hi:[1,0,1] neg_lo:[0,0,1] neg_hi:[0,0,1]
	v_pk_add_f32 v[26:27], v[22:23], v[2:3] op_sel:[0,1] op_sel_hi:[1,0] neg_lo:[0,1] neg_hi:[0,1]
	v_pk_add_f32 v[2:3], v[22:23], v[2:3] op_sel:[0,1] op_sel_hi:[1,0]
	v_pk_add_f32 v[14:15], v[24:25], v[14:15] neg_lo:[0,1] neg_hi:[0,1]
	v_mov_b32_e32 v27, v3
	v_pk_fma_f32 v[24:25], v[24:25], 2.0, v[14:15] op_sel_hi:[1,0,1] neg_lo:[0,0,1] neg_hi:[0,0,1]
	v_pk_fma_f32 v[22:23], v[22:23], 2.0, v[26:27] op_sel_hi:[1,0,1] neg_lo:[0,0,1] neg_hi:[0,0,1]
	v_lshl_add_u32 v2, v52, 5, 0
	ds_write2_b64 v2, v[24:25], v[22:23] offset1:1
	ds_write2_b64 v2, v[14:15], v[26:27] offset0:2 offset1:3
	v_pk_add_f32 v[2:3], v[32:33], v[48:49] neg_lo:[0,1] neg_hi:[0,1]
	v_pk_add_f32 v[16:17], v[42:43], v[16:17] neg_lo:[0,1] neg_hi:[0,1]
	v_pk_fma_f32 v[14:15], v[32:33], 2.0, v[2:3] op_sel_hi:[1,0,1] neg_lo:[0,0,1] neg_hi:[0,0,1]
	v_pk_fma_f32 v[22:23], v[42:43], 2.0, v[16:17] op_sel_hi:[1,0,1] neg_lo:[0,0,1] neg_hi:[0,0,1]
	v_pk_add_f32 v[24:25], v[2:3], v[16:17] op_sel:[0,1] op_sel_hi:[1,0] neg_lo:[0,1] neg_hi:[0,1]
	v_pk_add_f32 v[16:17], v[2:3], v[16:17] op_sel:[0,1] op_sel_hi:[1,0]
	v_pk_add_f32 v[22:23], v[14:15], v[22:23] neg_lo:[0,1] neg_hi:[0,1]
	v_mov_b32_e32 v25, v17
	v_pk_fma_f32 v[14:15], v[14:15], 2.0, v[22:23] op_sel_hi:[1,0,1] neg_lo:[0,0,1] neg_hi:[0,0,1]
	v_pk_fma_f32 v[2:3], v[2:3], 2.0, v[24:25] op_sel_hi:[1,0,1] neg_lo:[0,0,1] neg_hi:[0,0,1]
	v_lshl_add_u32 v16, v54, 5, 0
	ds_write2_b64 v16, v[14:15], v[2:3] offset1:1
	v_pk_add_f32 v[14:15], v[34:35], v[38:39] neg_lo:[0,1] neg_hi:[0,1]
	v_pk_add_f32 v[18:19], v[44:45], v[18:19] neg_lo:[0,1] neg_hi:[0,1]
	;; [unrolled: 1-line block ×3, first 2 shown]
	ds_write2_b64 v16, v[22:23], v[24:25] offset0:2 offset1:3
	v_pk_add_f32 v[10:11], v[6:7], v[10:11] neg_lo:[0,1] neg_hi:[0,1]
	v_pk_fma_f32 v[22:23], v[34:35], 2.0, v[14:15] op_sel_hi:[1,0,1] neg_lo:[0,0,1] neg_hi:[0,0,1]
	v_pk_fma_f32 v[24:25], v[44:45], 2.0, v[18:19] op_sel_hi:[1,0,1] neg_lo:[0,0,1] neg_hi:[0,0,1]
	v_pk_add_f32 v[26:27], v[14:15], v[18:19] op_sel:[0,1] op_sel_hi:[1,0] neg_lo:[0,1] neg_hi:[0,1]
	v_pk_add_f32 v[18:19], v[14:15], v[18:19] op_sel:[0,1] op_sel_hi:[1,0]
	v_pk_add_f32 v[12:13], v[2:3], v[10:11] op_sel:[0,1] op_sel_hi:[1,0]
	v_pk_add_f32 v[80:81], v[2:3], v[10:11] op_sel:[0,1] op_sel_hi:[1,0] neg_lo:[0,1] neg_hi:[0,1]
	v_pk_add_f32 v[24:25], v[22:23], v[24:25] neg_lo:[0,1] neg_hi:[0,1]
	v_mov_b32_e32 v27, v19
	v_mov_b32_e32 v81, v13
	v_lshl_add_u32 v28, v62, 5, 0
	v_pk_add_f32 v[8:9], v[4:5], v[8:9] neg_lo:[0,1] neg_hi:[0,1]
	v_pk_add_f32 v[12:13], v[36:37], v[40:41] neg_lo:[0,1] neg_hi:[0,1]
	v_pk_fma_f32 v[22:23], v[22:23], 2.0, v[24:25] op_sel_hi:[1,0,1] neg_lo:[0,0,1] neg_hi:[0,0,1]
	v_pk_fma_f32 v[14:15], v[14:15], 2.0, v[26:27] op_sel_hi:[1,0,1] neg_lo:[0,0,1] neg_hi:[0,0,1]
	;; [unrolled: 1-line block ×4, first 2 shown]
	ds_write2_b64 v28, v[22:23], v[14:15] offset1:1
	ds_write2_b64 v28, v[24:25], v[26:27] offset0:2 offset1:3
	v_pk_add_f32 v[14:15], v[12:13], v[8:9] op_sel:[0,1] op_sel_hi:[1,0] neg_lo:[0,1] neg_hi:[0,1]
	v_pk_add_f32 v[8:9], v[12:13], v[8:9] op_sel:[0,1] op_sel_hi:[1,0]
	v_pk_add_f32 v[4:5], v[16:17], v[4:5] neg_lo:[0,1] neg_hi:[0,1]
	v_mov_b32_e32 v15, v9
	v_or_b32_e32 v133, 0x1c0, v66
	v_lshl_add_u32 v29, v56, 5, 0
	v_pk_fma_f32 v[16:17], v[16:17], 2.0, v[4:5] op_sel_hi:[1,0,1] neg_lo:[0,0,1] neg_hi:[0,0,1]
	v_pk_fma_f32 v[12:13], v[12:13], 2.0, v[14:15] op_sel_hi:[1,0,1] neg_lo:[0,0,1] neg_hi:[0,0,1]
	v_cmp_gt_u32_e32 vcc, 42, v66
	ds_write2_b64 v29, v[16:17], v[12:13] offset1:1
	ds_write2_b64 v29, v[4:5], v[14:15] offset0:2 offset1:3
	s_and_saveexec_b64 s[4:5], vcc
	s_cbranch_execz .LBB0_23
; %bb.22:
	v_pk_fma_f32 v[0:1], v[0:1], 2.0, v[2:3] op_sel_hi:[1,0,1] neg_lo:[0,0,1] neg_hi:[0,0,1]
	v_pk_fma_f32 v[4:5], v[6:7], 2.0, v[10:11] op_sel_hi:[1,0,1] neg_lo:[0,0,1] neg_hi:[0,0,1]
	v_lshl_add_u32 v8, v133, 5, 0
	v_pk_add_f32 v[4:5], v[0:1], v[4:5] neg_lo:[0,1] neg_hi:[0,1]
	v_pk_fma_f32 v[2:3], v[2:3], 2.0, v[80:81] op_sel_hi:[1,0,1] neg_lo:[0,0,1] neg_hi:[0,0,1]
	v_pk_fma_f32 v[0:1], v[0:1], 2.0, v[4:5] op_sel_hi:[1,0,1] neg_lo:[0,0,1] neg_hi:[0,0,1]
	ds_write2_b64 v8, v[0:1], v[2:3] offset1:1
	ds_write2_b64 v8, v[4:5], v[80:81] offset0:2 offset1:3
.LBB0_23:
	s_or_b64 exec, exec, s[4:5]
	v_and_b32_e32 v134, 3, v66
	v_mul_u32_u24_e32 v0, 6, v134
	v_lshlrev_b32_e32 v8, 3, v0
	s_waitcnt lgkmcnt(0)
	; wave barrier
	s_waitcnt lgkmcnt(0)
	global_load_dwordx4 v[16:19], v8, s[8:9]
	global_load_dwordx4 v[4:7], v8, s[8:9] offset:16
	global_load_dwordx4 v[0:3], v8, s[8:9] offset:32
	ds_read2_b64 v[32:35], v130 offset0:96 offset1:152
	ds_read2_b64 v[24:27], v21 offset0:104 offset1:160
	;; [unrolled: 1-line block ×7, first 2 shown]
	ds_read_b64 v[82:83], v124 offset:15232
	ds_read2_b64 v[40:43], v73 offset1:56
	ds_read2_b64 v[44:47], v75 offset0:80 offset1:136
	ds_read2_b64 v[48:51], v129 offset0:144 offset1:200
	ds_read_b64 v[84:85], v63
	ds_read_b64 v[106:107], v125
	;; [unrolled: 1-line block ×3, first 2 shown]
	s_waitcnt lgkmcnt(7)
	v_mov_b32_e32 v90, v39
	v_mov_b32_e32 v91, v22
	;; [unrolled: 1-line block ×4, first 2 shown]
	s_waitcnt lgkmcnt(2)
	v_mov_b32_e32 v140, v85
	v_mov_b32_e32 v141, v32
	v_mov_b32_e32 v145, v28
	v_mov_b32_e32 v96, v83
	v_mov_b32_e32 v97, v8
	v_mov_b32_e32 v143, v30
	v_mov_b32_e32 v144, v13
	v_mov_b32_e32 v166, v22
	v_mov_b32_e32 v142, v15
	s_mov_b32 s18, 0x3eae86e6
	s_mov_b32 s19, 0xbf08b237
	;; [unrolled: 1-line block ×12, first 2 shown]
	s_waitcnt vmcnt(2)
	v_mov_b32_e32 v100, v17
	s_waitcnt vmcnt(1)
	v_mov_b32_e32 v101, v5
	;; [unrolled: 2-line block ×3, first 2 shown]
	v_pk_mul_f32 v[108:109], v[40:41], v[2:3] op_sel_hi:[1,0]
	v_pk_mul_f32 v[110:111], v[50:51], v[2:3] op_sel_hi:[1,0]
	;; [unrolled: 1-line block ×5, first 2 shown]
	v_mul_f32_e32 v120, v85, v19
	v_mul_f32_e32 v147, v33, v6
	v_pk_mul_f32 v[136:137], v[44:45], v[16:17] op_sel_hi:[1,0]
	v_mul_f32_e32 v149, v32, v7
	v_mul_f32_e32 v122, v25, v19
	v_mul_f32_e32 v121, v35, v6
	v_mov_b32_e32 v25, v35
	v_mov_b32_e32 v85, v33
	v_mul_f32_e32 v123, v34, v7
	v_pk_fma_f32 v[34:35], v[40:41], v[104:105], v[108:109] op_sel:[0,0,1] op_sel_hi:[1,0,0]
	v_pk_fma_f32 v[32:33], v[40:41], v[104:105], v[108:109] op_sel:[0,0,1] op_sel_hi:[1,0,0] neg_lo:[1,0,0] neg_hi:[1,0,0]
	v_pk_fma_f32 v[150:151], v[50:51], v[104:105], v[110:111] op_sel:[0,0,1] op_sel_hi:[1,0,0]
	v_pk_fma_f32 v[152:153], v[50:51], v[104:105], v[110:111] op_sel:[0,0,1] op_sel_hi:[1,0,0] neg_lo:[1,0,0] neg_hi:[1,0,0]
	;; [unrolled: 2-line block ×3, first 2 shown]
	v_pk_mul_f32 v[48:49], v[90:91], v[100:101]
	v_pk_fma_f32 v[90:91], v[36:37], v[16:17], v[116:117] op_sel:[0,1,1] op_sel_hi:[1,1,0]
	v_pk_fma_f32 v[50:51], v[36:37], v[16:17], v[116:117] op_sel:[0,1,1] op_sel_hi:[1,1,0] neg_lo:[1,0,0] neg_hi:[1,0,0]
	v_pk_fma_f32 v[40:41], v[46:47], v[16:17], v[118:119] op_sel:[0,1,1] op_sel_hi:[1,1,0]
	v_pk_fma_f32 v[36:37], v[46:47], v[16:17], v[118:119] op_sel:[0,1,1] op_sel_hi:[1,1,0] neg_lo:[1,0,0] neg_hi:[1,0,0]
	ds_read2_b64 v[116:119], v129 offset0:32 offset1:88
	v_mul_f32_e32 v165, v28, v5
	v_add_u32_e32 v28, 0x1400, v124
	v_pk_mul_f32 v[94:95], v[82:83], v[2:3] op_sel:[1,0] op_sel_hi:[0,1]
	v_pk_mul_f32 v[102:103], v[42:43], v[2:3] op_sel_hi:[1,0]
	v_mov_b32_e32 v138, v2
	v_mov_b32_e32 v2, v3
	;; [unrolled: 1-line block ×3, first 2 shown]
	v_pk_fma_f32 v[158:159], v[44:45], v[16:17], v[136:137] op_sel:[0,1,1] op_sel_hi:[1,1,0]
	v_pk_fma_f32 v[160:161], v[44:45], v[16:17], v[136:137] op_sel:[0,1,1] op_sel_hi:[1,1,0] neg_lo:[1,0,0] neg_hi:[1,0,0]
	ds_read2_b64 v[44:47], v28 offset0:88 offset1:144
	v_mov_b32_e32 v83, v9
	v_mov_b32_e32 v139, v6
	v_pk_mul_f32 v[2:3], v[96:97], v[2:3]
	v_add_u32_e32 v50, 0x2400, v124
	v_pk_fma_f32 v[88:89], v[42:43], v[104:105], v[102:103] op_sel:[0,0,1] op_sel_hi:[1,0,0]
	v_pk_fma_f32 v[42:43], v[42:43], v[104:105], v[102:103] op_sel:[0,0,1] op_sel_hi:[1,0,0] neg_lo:[1,0,0] neg_hi:[1,0,0]
	v_pk_fma_f32 v[104:105], v[82:83], v[138:139], v[2:3] neg_lo:[0,0,1] neg_hi:[0,0,1]
	v_pk_fma_f32 v[102:103], v[82:83], v[138:139], v[2:3]
	ds_read2_b64 v[136:139], v50 offset0:80 offset1:136
	v_pk_mul_f32 v[92:93], v[38:39], v[16:17] op_sel:[1,0] op_sel_hi:[0,1]
	v_mov_b32_e32 v39, v23
	v_mov_b32_e32 v98, v16
	;; [unrolled: 1-line block ×3, first 2 shown]
	v_pk_fma_f32 v[100:101], v[38:39], v[98:99], v[48:49] neg_lo:[0,0,1] neg_hi:[0,0,1]
	v_pk_fma_f32 v[48:49], v[38:39], v[98:99], v[48:49]
	v_mov_b32_e32 v2, v9
	s_waitcnt lgkmcnt(2)
	v_mov_b32_e32 v3, v118
	v_mov_b32_e32 v38, v7
	;; [unrolled: 1-line block ×3, first 2 shown]
	v_pk_mul_f32 v[2:3], v[2:3], v[38:39]
	v_mov_b32_e32 v38, v8
	v_mov_b32_e32 v39, v119
	;; [unrolled: 1-line block ×4, first 2 shown]
	s_waitcnt lgkmcnt(1)
	v_mul_f32_e32 v28, v47, v19
	v_pk_fma_f32 v[108:109], v[38:39], v[82:83], v[2:3]
	v_fma_f32 v111, v46, v18, -v28
	v_mov_b32_e32 v167, v46
	v_mov_b32_e32 v46, v23
	;; [unrolled: 1-line block ×4, first 2 shown]
	v_pk_mul_f32 v[168:169], v[46:47], v[38:39]
	v_pk_fma_f32 v[114:115], v[8:9], v[6:7], v[2:3] neg_lo:[0,0,1] neg_hi:[0,0,1]
	v_mul_f32_e32 v3, v45, v19
	v_mov_b32_e32 v2, v45
	s_waitcnt lgkmcnt(0)
	v_mov_b32_e32 v45, v139
	v_mul_f32_e32 v39, v137, v6
	v_mul_f32_e32 v83, v139, v6
	v_mov_b32_e32 v171, v6
	v_mov_b32_e32 v6, v19
	v_fma_f32 v96, v44, v18, -v3
	v_pk_mul_f32 v[8:9], v[44:45], v[6:7]
	v_mov_b32_e32 v3, v138
	v_mov_b32_e32 v170, v18
	v_pk_fma_f32 v[98:99], v[2:3], v[18:19], v[8:9]
	v_pk_fma_f32 v[46:47], v[2:3], v[170:171], v[8:9] neg_lo:[0,0,1] neg_hi:[0,0,1]
	v_mov_b32_e32 v2, v27
	v_mul_f32_e32 v28, v27, v19
	v_mov_b32_e32 v27, v137
	v_mov_b32_e32 v3, v136
	v_pk_mul_f32 v[8:9], v[26:27], v[6:7]
	v_mul_f32_e32 v146, v13, v1
	v_pk_fma_f32 v[44:45], v[2:3], v[18:19], v[8:9]
	v_pk_fma_f32 v[8:9], v[2:3], v[170:171], v[8:9] neg_lo:[0,0,1] neg_hi:[0,0,1]
	v_pk_mul_f32 v[2:3], v[24:25], v[6:7]
	v_mov_b32_e32 v13, v29
	v_mul_f32_e32 v163, v29, v4
	v_mul_f32_e32 v29, v30, v5
	v_fma_f32 v162, v24, v18, -v122
	v_fma_f32 v30, v26, v18, -v28
	v_pk_fma_f32 v[24:25], v[112:113], v[18:19], v[2:3]
	v_pk_fma_f32 v[26:27], v[112:113], v[170:171], v[2:3] neg_lo:[0,0,1] neg_hi:[0,0,1]
	v_pk_mul_f32 v[2:3], v[106:107], v[16:17] op_sel_hi:[1,0]
	v_mul_f32_e32 v97, v21, v4
	v_pk_fma_f32 v[172:173], v[106:107], v[16:17], v[2:3] op_sel:[0,1,1] op_sel_hi:[1,1,0]
	v_pk_fma_f32 v[2:3], v[106:107], v[16:17], v[2:3] op_sel:[0,1,1] op_sel_hi:[1,1,0] neg_lo:[1,0,0] neg_hi:[1,0,0]
	v_pk_mul_f32 v[16:17], v[84:85], v[6:7]
	v_fma_f32 v6, v84, v18, -v120
	v_pk_fma_f32 v[170:171], v[140:141], v[170:171], v[16:17] neg_lo:[0,0,1] neg_hi:[0,0,1]
	v_pk_fma_f32 v[16:17], v[140:141], v[18:19], v[16:17]
	v_mov_b32_e32 v18, v4
	v_pk_fma_f32 v[140:141], v[166:167], v[18:19], v[168:169]
	v_pk_fma_f32 v[22:23], v[22:23], v[18:19], v[168:169] neg_lo:[0,0,1] neg_hi:[0,0,1]
	v_mov_b32_e32 v18, v117
	v_mov_b32_e32 v19, v20
	v_mul_f32_e32 v8, v117, v1
	v_mov_b32_e32 v117, v21
	v_mul_f32_e32 v107, v20, v5
	ds_read_b64 v[20:21], v53
	v_mul_f32_e32 v113, v138, v7
	v_pk_mul_f32 v[138:139], v[10:11], v[0:1]
	v_mul_f32_e32 v135, v15, v1
	v_mov_b32_e32 v2, v139
	v_mov_b32_e32 v15, v31
	v_mul_f32_e32 v31, v31, v4
	v_mul_f32_e32 v85, v136, v7
	s_waitcnt lgkmcnt(0)
	v_mul_f32_e32 v7, v21, v4
	v_mov_b32_e32 v137, v4
	v_mov_b32_e32 v4, v1
	v_pk_fma_f32 v[138:139], v[10:11], v[0:1], v[2:3] neg_lo:[0,0,1] neg_hi:[0,0,1]
	v_mov_b32_e32 v166, v11
	v_mov_b32_e32 v11, v21
	v_fma_f32 v164, v12, v0, -v146
	v_fma_f32 v28, v14, v0, -v135
	v_pk_mul_f32 v[14:15], v[14:15], v[4:5]
	v_pk_mul_f32 v[12:13], v[12:13], v[4:5]
	;; [unrolled: 1-line block ×3, first 2 shown]
	v_mul_f32_e32 v139, v20, v5
	v_pk_mul_f32 v[4:5], v[116:117], v[4:5]
	v_fma_f32 v106, v116, v0, -v8
	v_mul_f32_e32 v8, v119, v1
	v_mov_b32_e32 v136, v0
	v_mov_b32_e32 v167, v20
	v_fma_f32 v21, v118, v0, -v8
	v_pk_fma_f32 v[168:169], v[18:19], v[0:1], v[4:5]
	v_pk_fma_f32 v[118:119], v[18:19], v[136:137], v[4:5] neg_lo:[0,0,1] neg_hi:[0,0,1]
	v_pk_fma_f32 v[116:117], v[142:143], v[0:1], v[14:15]
	v_pk_fma_f32 v[4:5], v[142:143], v[136:137], v[14:15] neg_lo:[0,0,1] neg_hi:[0,0,1]
	v_pk_fma_f32 v[14:15], v[144:145], v[0:1], v[12:13]
	v_pk_fma_f32 v[0:1], v[166:167], v[0:1], v[10:11]
	v_pk_fma_f32 v[10:11], v[166:167], v[136:137], v[10:11] neg_lo:[0,0,1] neg_hi:[0,0,1]
	v_mov_b32_e32 v146, v3
	v_mov_b32_e32 v148, v157
	;; [unrolled: 1-line block ×6, first 2 shown]
	v_pk_add_f32 v[146:147], v[146:147], v[148:149]
	v_pk_add_f32 v[148:149], v[6:7], v[138:139]
	v_pk_fma_f32 v[18:19], v[144:145], v[136:137], v[12:13] neg_lo:[0,0,1] neg_hi:[0,0,1]
	v_pk_add_f32 v[136:137], v[172:173], v[154:155]
	v_pk_add_f32 v[144:145], v[16:17], v[0:1]
	v_pk_add_f32 v[16:17], v[16:17], v[0:1] neg_lo:[0,1] neg_hi:[0,1]
	v_mov_b32_e32 v1, v6
	v_mov_b32_e32 v0, v147
	;; [unrolled: 1-line block ×4, first 2 shown]
	v_pk_add_f32 v[142:143], v[172:173], v[154:155] neg_lo:[0,1] neg_hi:[0,1]
	v_pk_add_f32 v[6:7], v[0:1], v[2:3] neg_lo:[0,1] neg_hi:[0,1]
	v_mov_b32_e32 v0, v11
	v_mov_b32_e32 v1, v144
	;; [unrolled: 1-line block ×4, first 2 shown]
	v_pk_add_f32 v[0:1], v[0:1], v[2:3]
	v_mov_b32_e32 v2, v142
	v_mov_b32_e32 v3, v17
	v_pk_add_f32 v[10:11], v[148:149], v[146:147]
	v_pk_add_f32 v[138:139], v[2:3], v[6:7] neg_lo:[0,1] neg_hi:[0,1]
	v_mov_b32_e32 v2, v6
	v_mov_b32_e32 v3, v143
	;; [unrolled: 1-line block ×4, first 2 shown]
	v_pk_add_f32 v[166:167], v[10:11], v[0:1]
	ds_read2_b64 v[10:13], v124 offset1:56
	v_pk_add_f32 v[2:3], v[2:3], v[16:17] neg_lo:[0,1] neg_hi:[0,1]
	v_mov_b32_e32 v1, v144
	v_pk_mul_f32 v[154:155], v[2:3], s[24:25]
	v_pk_add_f32 v[2:3], v[16:17], v[6:7]
	v_pk_add_f32 v[170:171], v[146:147], v[0:1] neg_lo:[0,1] neg_hi:[0,1]
	v_pk_add_f32 v[156:157], v[2:3], v[142:143]
	v_mov_b32_e32 v2, v0
	v_mov_b32_e32 v3, v136
	v_pk_add_f32 v[2:3], v[2:3], v[148:149] neg_lo:[0,1] neg_hi:[0,1]
	s_waitcnt lgkmcnt(0)
	v_pk_add_f32 v[10:11], v[166:167], v[10:11]
	v_pk_mul_f32 v[172:173], v[2:3], s[22:23]
	v_pk_fma_f32 v[166:167], v[166:167], s[20:21], v[10:11] op_sel_hi:[1,0,1] neg_lo:[1,0,0] neg_hi:[1,0,0]
	v_pk_fma_f32 v[0:1], v[170:171], s[16:17], v[172:173]
	v_pk_fma_f32 v[2:3], v[138:139], s[18:19], v[154:155]
	v_pk_add_f32 v[0:1], v[0:1], v[166:167]
	v_pk_fma_f32 v[2:3], v[156:157], s[4:5], v[2:3] op_sel_hi:[1,0,1]
	v_mov_b32_e32 v17, v7
	v_pk_add_f32 v[174:175], v[0:1], v[2:3]
	v_pk_add_f32 v[176:177], v[0:1], v[2:3] neg_lo:[0,1] neg_hi:[0,1]
	v_lshrrev_b32_e32 v0, 2, v66
	v_mul_u32_u24_e32 v0, 28, v0
	v_or_b32_e32 v0, v0, v134
	v_lshl_add_u32 v4, v0, 3, 0
	v_mov_b32_e32 v178, v174
	v_mov_b32_e32 v179, v177
	v_pk_add_f32 v[6:7], v[16:17], v[142:143] neg_lo:[0,1] neg_hi:[0,1]
	v_mov_b32_e32 v149, v144
	v_mov_b32_e32 v147, v136
	v_pk_mul_f32 v[16:17], v[138:139], s[18:19]
	v_pk_mul_f32 v[136:137], v[170:171], s[16:17]
	ds_read2_b64 v[0:3], v124 offset0:112 offset1:168
	s_waitcnt lgkmcnt(0)
	; wave barrier
	s_waitcnt lgkmcnt(0)
	ds_write2_b64 v4, v[10:11], v[178:179] offset1:4
	v_pk_add_f32 v[10:11], v[148:149], v[146:147] neg_lo:[0,1] neg_hi:[0,1]
	v_mov_b32_e32 v138, v136
	v_mov_b32_e32 v139, v173
	v_mov_b32_e32 v142, v16
	v_mov_b32_e32 v143, v155
	v_mov_b32_e32 v173, v137
	v_mov_b32_e32 v155, v17
	v_pk_fma_f32 v[138:139], v[10:11], s[14:15], v[138:139] op_sel_hi:[1,0,1] neg_lo:[1,0,1] neg_hi:[1,0,1]
	v_pk_fma_f32 v[142:143], v[6:7], s[12:13], v[142:143] op_sel_hi:[1,0,1] neg_lo:[1,0,1] neg_hi:[1,0,1]
	;; [unrolled: 1-line block ×4, first 2 shown]
	v_pk_add_f32 v[138:139], v[138:139], v[166:167]
	v_pk_fma_f32 v[142:143], v[156:157], s[4:5], v[142:143] op_sel_hi:[1,0,1]
	v_pk_add_f32 v[10:11], v[10:11], v[166:167]
	v_pk_fma_f32 v[6:7], v[156:157], s[4:5], v[6:7] op_sel_hi:[1,0,1]
	v_pk_add_f32 v[144:145], v[138:139], v[142:143]
	v_pk_add_f32 v[138:139], v[138:139], v[142:143] neg_lo:[0,1] neg_hi:[0,1]
	v_pk_add_f32 v[16:17], v[10:11], v[6:7] neg_lo:[0,1] neg_hi:[0,1]
	v_pk_add_f32 v[6:7], v[10:11], v[6:7]
	v_mov_b32_e32 v120, v161
	v_mov_b32_e32 v122, v153
	;; [unrolled: 1-line block ×12, first 2 shown]
	v_pk_add_f32 v[120:121], v[120:121], v[122:123]
	v_pk_add_f32 v[122:123], v[162:163], v[164:165]
	ds_write2_b64 v4, v[10:11], v[136:137] offset0:8 offset1:12
	ds_write2_b64 v4, v[6:7], v[138:139] offset0:16 offset1:20
	v_pk_add_f32 v[138:139], v[158:159], v[150:151] neg_lo:[0,1] neg_hi:[0,1]
	v_pk_add_f32 v[144:145], v[24:25], v[14:15] neg_lo:[0,1] neg_hi:[0,1]
	v_mov_b32_e32 v7, v162
	v_mov_b32_e32 v6, v121
	;; [unrolled: 1-line block ×4, first 2 shown]
	v_pk_add_f32 v[142:143], v[24:25], v[14:15]
	v_pk_add_f32 v[146:147], v[6:7], v[10:11] neg_lo:[0,1] neg_hi:[0,1]
	v_mov_b32_e32 v14, v138
	v_mov_b32_e32 v15, v145
	v_pk_add_f32 v[136:137], v[158:159], v[150:151]
	v_pk_add_f32 v[148:149], v[14:15], v[146:147] neg_lo:[0,1] neg_hi:[0,1]
	v_mov_b32_e32 v14, v146
	v_mov_b32_e32 v15, v139
	;; [unrolled: 1-line block ×6, first 2 shown]
	v_pk_add_f32 v[14:15], v[14:15], v[144:145] neg_lo:[0,1] neg_hi:[0,1]
	v_pk_add_f32 v[6:7], v[6:7], v[10:11]
	v_pk_add_f32 v[10:11], v[122:123], v[120:121]
	v_pk_mul_f32 v[150:151], v[14:15], s[24:25]
	v_pk_add_f32 v[14:15], v[144:145], v[146:147]
	v_mov_b32_e32 v123, v11
	v_pk_add_f32 v[152:153], v[14:15], v[138:139]
	v_mov_b32_e32 v14, v6
	v_mov_b32_e32 v15, v136
	;; [unrolled: 1-line block ×3, first 2 shown]
	v_pk_add_f32 v[10:11], v[10:11], v[6:7]
	v_pk_add_f32 v[14:15], v[14:15], v[122:123] neg_lo:[0,1] neg_hi:[0,1]
	v_mov_b32_e32 v7, v142
	v_mov_b32_e32 v177, v175
	v_pk_add_f32 v[12:13], v[12:13], v[10:11]
	v_pk_add_f32 v[154:155], v[120:121], v[6:7] neg_lo:[0,1] neg_hi:[0,1]
	v_pk_mul_f32 v[156:157], v[14:15], s[22:23]
	ds_write_b64 v4, v[176:177] offset:192
	v_pk_fma_f32 v[158:159], v[10:11], s[20:21], v[12:13] op_sel_hi:[1,0,1] neg_lo:[1,0,0] neg_hi:[1,0,0]
	v_pk_fma_f32 v[6:7], v[154:155], s[16:17], v[156:157]
	v_pk_fma_f32 v[10:11], v[148:149], s[18:19], v[150:151]
	v_lshrrev_b32_e32 v4, 2, v132
	v_pk_add_f32 v[6:7], v[6:7], v[158:159]
	v_pk_fma_f32 v[10:11], v[152:153], s[4:5], v[10:11] op_sel_hi:[1,0,1]
	v_mul_u32_u24_e32 v4, 28, v4
	v_pk_add_f32 v[160:161], v[6:7], v[10:11]
	v_pk_add_f32 v[162:163], v[6:7], v[10:11] neg_lo:[0,1] neg_hi:[0,1]
	v_or_b32_e32 v4, v4, v134
	v_lshl_add_u32 v118, v4, 3, 0
	v_mov_b32_e32 v6, v160
	v_mov_b32_e32 v7, v163
	ds_write2_b64 v118, v[12:13], v[6:7] offset1:4
	v_mov_b32_e32 v6, v92
	v_mov_b32_e32 v7, v94
	;; [unrolled: 1-line block ×3, first 2 shown]
	v_pk_add_f32 v[10:11], v[6:7], v[94:95]
	v_mov_b32_e32 v13, v100
	v_mov_b32_e32 v4, v11
	v_pk_add_f32 v[6:7], v[10:11], v[4:5]
	v_mov_b32_e32 v12, v10
	v_mov_b32_e32 v10, v11
	v_mov_b32_e32 v11, v104
	v_mov_b32_e32 v110, v141
	v_mov_b32_e32 v20, v109
	v_pk_add_f32 v[10:11], v[12:13], v[10:11] neg_lo:[0,1] neg_hi:[0,1]
	v_add_f32_e32 v14, v111, v21
	v_pk_add_f32 v[12:13], v[110:111], v[20:21] neg_lo:[0,1] neg_hi:[0,1]
	v_mov_b32_e32 v20, v103
	v_mov_b32_e32 v21, v114
	;; [unrolled: 1-line block ×6, first 2 shown]
	v_pk_add_f32 v[20:21], v[20:21], v[24:25] neg_lo:[0,1] neg_hi:[0,1]
	v_pk_add_f32 v[18:19], v[22:23], v[114:115]
	v_mov_b32_e32 v22, v20
	v_mov_b32_e32 v23, v11
	;; [unrolled: 1-line block ×6, first 2 shown]
	v_pk_add_f32 v[22:23], v[22:23], v[24:25] neg_lo:[0,1] neg_hi:[0,1]
	v_mov_b32_e32 v24, v10
	v_pk_add_f32 v[26:27], v[20:21], v[12:13]
	v_mov_b32_e32 v21, v13
	v_mov_b32_e32 v7, v6
	v_pk_add_f32 v[16:17], v[100:101], v[104:105]
	v_pk_add_f32 v[92:93], v[24:25], v[20:21] neg_lo:[0,1] neg_hi:[0,1]
	v_pk_add_f32 v[20:21], v[18:19], v[6:7]
	v_add_f32_e32 v24, v14, v16
	v_mov_b32_e32 v25, v17
	v_mov_b32_e32 v20, v18
	v_pk_add_f32 v[48:49], v[24:25], v[20:21]
	v_mov_b32_e32 v21, v6
	v_mov_b32_e32 v15, v17
	v_pk_add_f32 v[24:25], v[20:21], v[14:15] neg_lo:[0,1] neg_hi:[0,1]
	v_pk_add_f32 v[20:21], v[26:27], v[10:11]
	v_pk_add_f32 v[86:87], v[86:87], v[48:49]
	v_pk_mul_f32 v[26:27], v[24:25], s[22:23]
	v_pk_mul_f32 v[24:25], v[22:23], s[24:25]
	v_pk_add_f32 v[100:101], v[16:17], v[18:19] neg_lo:[0,1] neg_hi:[0,1]
	v_mov_b32_e32 v38, v37
	v_mov_b32_e32 v84, v33
	v_pk_fma_f32 v[22:23], v[48:49], s[20:21], v[86:87] op_sel_hi:[1,0,1] neg_lo:[1,0,0] neg_hi:[1,0,0]
	v_pk_fma_f32 v[48:49], v[100:101], s[16:17], v[26:27]
	v_pk_fma_f32 v[94:95], v[92:93], s[18:19], v[24:25]
	v_mov_b32_e32 v82, v51
	v_mov_b32_e32 v112, v43
	;; [unrolled: 1-line block ×4, first 2 shown]
	v_pk_add_f32 v[32:33], v[38:39], v[84:85]
	v_pk_add_f32 v[36:37], v[30:31], v[28:29]
	;; [unrolled: 1-line block ×3, first 2 shown]
	v_pk_fma_f32 v[102:103], v[20:21], s[4:5], v[94:95] op_sel_hi:[1,0,1]
	v_mov_b32_e32 v91, v51
	v_mov_b32_e32 v89, v43
	;; [unrolled: 1-line block ×4, first 2 shown]
	v_pk_add_f32 v[42:43], v[82:83], v[112:113]
	v_pk_add_f32 v[82:83], v[96:97], v[106:107]
	v_mov_b32_e32 v105, v106
	v_mov_b32_e32 v31, v30
	;; [unrolled: 1-line block ×8, first 2 shown]
	v_pk_mul_f32 v[84:85], v[148:149], s[18:19]
	v_pk_mul_f32 v[106:107], v[154:155], s[16:17]
	v_pk_add_f32 v[94:95], v[48:49], v[102:103] neg_lo:[0,1] neg_hi:[0,1]
	v_pk_add_f32 v[48:49], v[48:49], v[102:103]
	v_pk_add_f32 v[102:103], v[90:91], v[88:89]
	v_pk_add_f32 v[88:89], v[90:91], v[88:89] neg_lo:[0,1] neg_hi:[0,1]
	v_pk_add_f32 v[90:91], v[98:99], v[168:169]
	v_mov_b32_e32 v97, v96
	v_mov_b32_e32 v96, v43
	;; [unrolled: 1-line block ×3, first 2 shown]
	v_pk_add_f32 v[28:29], v[30:31], v[28:29] neg_lo:[0,1] neg_hi:[0,1]
	v_pk_add_f32 v[30:31], v[144:145], v[138:139] neg_lo:[0,1] neg_hi:[0,1]
	;; [unrolled: 1-line block ×3, first 2 shown]
	v_mov_b32_e32 v108, v106
	v_mov_b32_e32 v109, v157
	;; [unrolled: 1-line block ×5, first 2 shown]
	v_lshrrev_b32_e32 v4, 2, v59
	v_mov_b32_e32 v151, v85
	v_pk_add_f32 v[96:97], v[96:97], v[104:105] neg_lo:[0,1] neg_hi:[0,1]
	v_mov_b32_e32 v104, v119
	v_mov_b32_e32 v105, v90
	;; [unrolled: 1-line block ×6, first 2 shown]
	v_pk_fma_f32 v[108:109], v[38:39], s[14:15], v[108:109] op_sel_hi:[1,0,1] neg_lo:[1,0,1] neg_hi:[1,0,1]
	v_pk_fma_f32 v[110:111], v[30:31], s[12:13], v[110:111] op_sel_hi:[1,0,1] neg_lo:[1,0,1] neg_hi:[1,0,1]
	;; [unrolled: 1-line block ×3, first 2 shown]
	v_mul_u32_u24_e32 v4, 28, v4
	v_pk_fma_f32 v[30:31], v[30:31], s[12:13], v[150:151] op_sel_hi:[1,0,1] neg_lo:[0,0,1] neg_hi:[0,0,1]
	v_pk_add_f32 v[46:47], v[104:105], v[46:47]
	v_pk_add_f32 v[104:105], v[40:41], v[34:35]
	v_pk_add_f32 v[34:35], v[40:41], v[34:35] neg_lo:[0,1] neg_hi:[0,1]
	v_pk_add_f32 v[40:41], v[44:45], v[116:117]
	v_pk_add_f32 v[108:109], v[108:109], v[158:159]
	v_pk_fma_f32 v[110:111], v[152:153], s[4:5], v[110:111] op_sel_hi:[1,0,1]
	v_or_b32_e32 v4, v4, v134
	v_pk_add_f32 v[38:39], v[38:39], v[158:159]
	v_pk_fma_f32 v[30:31], v[152:153], s[4:5], v[30:31] op_sel_hi:[1,0,1]
	v_pk_add_f32 v[112:113], v[108:109], v[110:111]
	v_pk_add_f32 v[108:109], v[108:109], v[110:111] neg_lo:[0,1] neg_hi:[0,1]
	v_lshl_add_u32 v7, v4, 3, 0
	v_pk_add_f32 v[110:111], v[38:39], v[30:31] neg_lo:[0,1] neg_hi:[0,1]
	v_pk_add_f32 v[30:31], v[38:39], v[30:31]
	v_mov_b32_e32 v4, v5
	v_mov_b32_e32 v5, v40
	v_mov_b32_e32 v8, v9
	v_mov_b32_e32 v9, v104
	v_mov_b32_e32 v106, v112
	v_mov_b32_e32 v107, v109
	v_mov_b32_e32 v38, v110
	v_mov_b32_e32 v39, v31
	v_pk_add_f32 v[4:5], v[4:5], v[8:9]
	v_pk_add_f32 v[8:9], v[36:37], v[32:33]
	v_pk_add_f32 v[44:45], v[44:45], v[116:117] neg_lo:[0,1] neg_hi:[0,1]
	ds_write2_b64 v118, v[106:107], v[38:39] offset0:8 offset1:12
	v_mov_b32_e32 v106, v28
	v_mov_b32_e32 v107, v35
	;; [unrolled: 1-line block ×8, first 2 shown]
	v_pk_add_f32 v[106:107], v[106:107], v[44:45] neg_lo:[0,1] neg_hi:[0,1]
	v_mov_b32_e32 v33, v9
	v_pk_add_f32 v[8:9], v[8:9], v[4:5]
	v_pk_add_f32 v[110:111], v[110:111], v[36:37] neg_lo:[0,1] neg_hi:[0,1]
	v_mov_b32_e32 v5, v40
	v_pk_add_f32 v[38:39], v[38:39], v[28:29] neg_lo:[0,1] neg_hi:[0,1]
	v_pk_mul_f32 v[106:107], v[106:107], s[24:25]
	v_pk_add_f32 v[0:1], v[0:1], v[8:9]
	v_pk_add_f32 v[114:115], v[44:45], v[28:29]
	v_pk_add_f32 v[4:5], v[32:33], v[4:5] neg_lo:[0,1] neg_hi:[0,1]
	v_pk_mul_f32 v[110:111], v[110:111], s[22:23]
	v_mov_b32_e32 v109, v113
	v_pk_add_f32 v[114:115], v[114:115], v[34:35]
	v_pk_fma_f32 v[8:9], v[8:9], s[20:21], v[0:1] op_sel_hi:[1,0,1] neg_lo:[1,0,0] neg_hi:[1,0,0]
	v_pk_fma_f32 v[112:113], v[4:5], s[16:17], v[110:111]
	ds_write2_b64 v118, v[30:31], v[108:109] offset0:16 offset1:20
	v_pk_fma_f32 v[30:31], v[38:39], s[18:19], v[106:107]
	v_pk_add_f32 v[108:109], v[112:113], v[8:9]
	v_pk_fma_f32 v[30:31], v[114:115], s[4:5], v[30:31] op_sel_hi:[1,0,1]
	v_mov_b32_e32 v163, v161
	v_pk_add_f32 v[112:113], v[108:109], v[30:31]
	v_pk_add_f32 v[30:31], v[108:109], v[30:31] neg_lo:[0,1] neg_hi:[0,1]
	v_pk_add_f32 v[84:85], v[82:83], v[42:43]
	ds_write_b64 v118, v[162:163] offset:192
	v_mov_b32_e32 v118, v112
	v_mov_b32_e32 v119, v31
	v_pk_add_f32 v[98:99], v[98:99], v[168:169] neg_lo:[0,1] neg_hi:[0,1]
	v_mov_b32_e32 v83, v85
	v_mov_b32_e32 v116, v96
	;; [unrolled: 1-line block ×3, first 2 shown]
	ds_write2_b64 v7, v[0:1], v[118:119] offset1:4
	v_mov_b32_e32 v118, v46
	v_mov_b32_e32 v119, v102
	;; [unrolled: 1-line block ×3, first 2 shown]
	v_pk_mul_f32 v[38:39], v[38:39], s[18:19]
	v_pk_mul_f32 v[4:5], v[4:5], s[16:17]
	v_mov_b32_e32 v37, v40
	v_mov_b32_e32 v33, v104
	;; [unrolled: 1-line block ×3, first 2 shown]
	v_pk_add_f32 v[84:85], v[84:85], v[46:47]
	v_mov_b32_e32 v108, v88
	v_mov_b32_e32 v109, v99
	v_pk_add_f32 v[116:117], v[116:117], v[98:99] neg_lo:[0,1] neg_hi:[0,1]
	v_pk_add_f32 v[118:119], v[118:119], v[82:83] neg_lo:[0,1] neg_hi:[0,1]
	v_mov_b32_e32 v47, v90
	v_pk_add_f32 v[28:29], v[44:45], v[34:35] neg_lo:[0,1] neg_hi:[0,1]
	v_pk_add_f32 v[32:33], v[36:37], v[32:33] neg_lo:[0,1] neg_hi:[0,1]
	v_mov_b32_e32 v36, v4
	v_mov_b32_e32 v37, v111
	;; [unrolled: 1-line block ×6, first 2 shown]
	v_pk_add_f32 v[2:3], v[2:3], v[84:85]
	v_pk_add_f32 v[108:109], v[108:109], v[96:97] neg_lo:[0,1] neg_hi:[0,1]
	v_pk_mul_f32 v[116:117], v[116:117], s[24:25]
	v_pk_add_f32 v[0:1], v[98:99], v[96:97]
	v_pk_add_f32 v[46:47], v[42:43], v[46:47] neg_lo:[0,1] neg_hi:[0,1]
	v_pk_mul_f32 v[118:119], v[118:119], s[22:23]
	v_pk_fma_f32 v[36:37], v[32:33], s[14:15], v[36:37] op_sel_hi:[1,0,1] neg_lo:[1,0,1] neg_hi:[1,0,1]
	v_pk_fma_f32 v[40:41], v[28:29], s[12:13], v[40:41] op_sel_hi:[1,0,1] neg_lo:[1,0,1] neg_hi:[1,0,1]
	;; [unrolled: 1-line block ×4, first 2 shown]
	v_pk_add_f32 v[0:1], v[0:1], v[88:89]
	v_pk_fma_f32 v[84:85], v[84:85], s[20:21], v[2:3] op_sel_hi:[1,0,1] neg_lo:[1,0,0] neg_hi:[1,0,0]
	v_pk_fma_f32 v[120:121], v[46:47], s[16:17], v[118:119]
	v_pk_fma_f32 v[122:123], v[108:109], s[18:19], v[116:117]
	v_lshrrev_b32_e32 v15, 2, v61
	v_pk_add_f32 v[36:37], v[36:37], v[8:9]
	v_pk_fma_f32 v[40:41], v[114:115], s[4:5], v[40:41] op_sel_hi:[1,0,1]
	v_pk_add_f32 v[4:5], v[4:5], v[8:9]
	v_pk_fma_f32 v[8:9], v[114:115], s[4:5], v[28:29] op_sel_hi:[1,0,1]
	;; [unrolled: 2-line block ×3, first 2 shown]
	v_pk_mul_f32 v[34:35], v[100:101], s[16:17]
	v_mul_u32_u24_e32 v15, 28, v15
	v_pk_add_f32 v[100:101], v[36:37], v[40:41]
	v_pk_add_f32 v[36:37], v[36:37], v[40:41] neg_lo:[0,1] neg_hi:[0,1]
	v_pk_add_f32 v[28:29], v[4:5], v[8:9] neg_lo:[0,1] neg_hi:[0,1]
	v_pk_add_f32 v[4:5], v[4:5], v[8:9]
	v_pk_add_f32 v[136:137], v[120:121], v[122:123]
	v_pk_add_f32 v[120:121], v[120:121], v[122:123] neg_lo:[0,1] neg_hi:[0,1]
	v_or_b32_e32 v15, v15, v134
	v_mov_b32_e32 v41, v37
	v_mov_b32_e32 v9, v5
	;; [unrolled: 1-line block ×4, first 2 shown]
	v_pk_mul_f32 v[44:45], v[92:93], s[18:19]
	v_lshl_add_u32 v15, v15, 3, 0
	v_pk_mul_f32 v[92:93], v[108:109], s[18:19]
	v_pk_mul_f32 v[46:47], v[46:47], s[16:17]
	v_mov_b32_e32 v40, v100
	v_mov_b32_e32 v8, v28
	ds_write2_b64 v7, v[4:5], v[36:37] offset0:16 offset1:20
	v_mov_b32_e32 v31, v113
	v_mov_b32_e32 v4, v136
	;; [unrolled: 1-line block ×6, first 2 shown]
	ds_write2_b64 v7, v[40:41], v[8:9] offset0:8 offset1:12
	ds_write_b64 v7, v[30:31] offset:192
	ds_write2_b64 v15, v[2:3], v[4:5] offset1:4
	v_pk_add_f32 v[2:3], v[98:99], v[88:89] neg_lo:[0,1] neg_hi:[0,1]
	v_pk_add_f32 v[4:5], v[82:83], v[42:43] neg_lo:[0,1] neg_hi:[0,1]
	v_mov_b32_e32 v8, v46
	v_mov_b32_e32 v9, v119
	;; [unrolled: 1-line block ×6, first 2 shown]
	v_pk_fma_f32 v[8:9], v[4:5], s[14:15], v[8:9] op_sel_hi:[1,0,1] neg_lo:[1,0,1] neg_hi:[1,0,1]
	v_pk_fma_f32 v[28:29], v[2:3], s[12:13], v[28:29] op_sel_hi:[1,0,1] neg_lo:[1,0,1] neg_hi:[1,0,1]
	;; [unrolled: 1-line block ×4, first 2 shown]
	v_pk_add_f32 v[8:9], v[8:9], v[84:85]
	v_pk_fma_f32 v[28:29], v[0:1], s[4:5], v[28:29] op_sel_hi:[1,0,1]
	v_pk_add_f32 v[4:5], v[4:5], v[84:85]
	v_pk_fma_f32 v[0:1], v[0:1], s[4:5], v[2:3] op_sel_hi:[1,0,1]
	v_pk_add_f32 v[30:31], v[8:9], v[28:29]
	v_pk_add_f32 v[8:9], v[8:9], v[28:29] neg_lo:[0,1] neg_hi:[0,1]
	v_pk_add_f32 v[2:3], v[4:5], v[0:1] neg_lo:[0,1] neg_hi:[0,1]
	v_pk_add_f32 v[0:1], v[4:5], v[0:1]
	v_mov_b32_e32 v29, v9
	v_mov_b32_e32 v5, v1
	;; [unrolled: 1-line block ×4, first 2 shown]
	ds_write2_b64 v15, v[0:1], v[8:9] offset0:16 offset1:20
	v_lshrrev_b32_e32 v0, 2, v52
	v_mul_lo_u32 v0, v0, 28
	v_mov_b32_e32 v28, v30
	v_mov_b32_e32 v4, v2
	;; [unrolled: 1-line block ×3, first 2 shown]
	v_or_b32_e32 v0, v0, v134
	ds_write2_b64 v15, v[28:29], v[4:5] offset0:8 offset1:12
	ds_write_b64 v15, v[120:121] offset:192
	v_lshl_add_u32 v18, v0, 3, 0
	v_mov_b32_e32 v0, v48
	v_mov_b32_e32 v1, v95
	;; [unrolled: 1-line block ×4, first 2 shown]
	ds_write2_b64 v18, v[86:87], v[0:1] offset1:4
	v_pk_add_f32 v[0:1], v[14:15], v[16:17] neg_lo:[0,1] neg_hi:[0,1]
	v_pk_add_f32 v[2:3], v[12:13], v[10:11] neg_lo:[0,1] neg_hi:[0,1]
	v_mov_b32_e32 v4, v34
	v_mov_b32_e32 v5, v27
	;; [unrolled: 1-line block ×6, first 2 shown]
	v_pk_fma_f32 v[4:5], v[0:1], s[14:15], v[4:5] op_sel_hi:[1,0,1] neg_lo:[1,0,1] neg_hi:[1,0,1]
	v_pk_fma_f32 v[6:7], v[2:3], s[12:13], v[6:7] op_sel_hi:[1,0,1] neg_lo:[1,0,1] neg_hi:[1,0,1]
	;; [unrolled: 1-line block ×4, first 2 shown]
	v_pk_add_f32 v[4:5], v[4:5], v[22:23]
	v_pk_fma_f32 v[6:7], v[20:21], s[4:5], v[6:7] op_sel_hi:[1,0,1]
	v_pk_add_f32 v[0:1], v[0:1], v[22:23]
	v_pk_fma_f32 v[2:3], v[20:21], s[4:5], v[2:3] op_sel_hi:[1,0,1]
	v_pk_add_f32 v[8:9], v[4:5], v[6:7]
	v_pk_add_f32 v[4:5], v[4:5], v[6:7] neg_lo:[0,1] neg_hi:[0,1]
	v_pk_add_f32 v[10:11], v[0:1], v[2:3] neg_lo:[0,1] neg_hi:[0,1]
	v_pk_add_f32 v[0:1], v[0:1], v[2:3]
	v_mov_b32_e32 v6, v8
	v_mov_b32_e32 v7, v5
	;; [unrolled: 1-line block ×7, first 2 shown]
	ds_write2_b64 v18, v[6:7], v[2:3] offset0:8 offset1:12
	ds_write2_b64 v18, v[0:1], v[4:5] offset0:16 offset1:20
	ds_write_b64 v18, v[94:95] offset:192
	s_waitcnt lgkmcnt(0)
	; wave barrier
	s_waitcnt lgkmcnt(0)
	ds_read2_b64 v[28:31], v124 offset1:56
	ds_read2_b64 v[0:3], v79 offset0:128 offset1:212
	ds_read2_b64 v[32:35], v130 offset0:12 offset1:68
	;; [unrolled: 1-line block ×5, first 2 shown]
	ds_read_b32 v110, v124 offset:7844
	ds_read_b64 v[112:113], v126
	ds_read_b64 v[114:115], v125
	;; [unrolled: 1-line block ×3, first 2 shown]
	ds_read2_b64 v[24:27], v77 offset0:92 offset1:148
	ds_read2_b64 v[20:23], v75 offset0:192 offset1:248
	;; [unrolled: 1-line block ×4, first 2 shown]
	ds_read_b64 v[108:109], v127
	ds_read_b64 v[106:107], v63
	;; [unrolled: 1-line block ×4, first 2 shown]
	ds_read2_b64 v[8:11], v129 offset0:172 offset1:228
	ds_read_b64 v[100:101], v71
	ds_read_b64 v[98:99], v128
	;; [unrolled: 1-line block ×3, first 2 shown]
	ds_read2_b64 v[4:7], v73 offset0:28 offset1:84
	s_and_saveexec_b64 s[4:5], s[2:3]
	s_cbranch_execz .LBB0_25
; %bb.24:
	ds_read_b64 v[94:95], v124 offset:7616
	ds_read_b64 v[80:81], v124 offset:15456
	s_waitcnt lgkmcnt(1)
	v_mov_b32_e32 v49, v95
.LBB0_25:
	s_or_b64 exec, exec, s[4:5]
	v_subrev_u32_e32 v51, 28, v66
	v_cndmask_b32_e64 v84, v51, v66, s[2:3]
	v_lshrrev_b16_e32 v51, 2, v132
	v_and_b32_e32 v51, 63, v51
	v_mul_lo_u16_e32 v51, 37, v51
	v_mov_b32_e32 v55, 28
	v_mul_lo_u16_sdwa v57, v51, v55 dst_sel:DWORD dst_unused:UNUSED_PAD src0_sel:BYTE_1 src1_sel:DWORD
	v_sub_u16_e32 v71, v132, v57
	v_lshrrev_b16_e32 v57, 2, v59
	v_and_b32_e32 v57, 63, v57
	v_mul_lo_u16_e32 v83, 37, v57
	v_mul_lo_u16_sdwa v57, v83, v55 dst_sel:DWORD dst_unused:UNUSED_PAD src0_sel:BYTE_1 src1_sel:DWORD
	v_sub_u16_e32 v73, v59, v57
	v_lshrrev_b16_e32 v57, 2, v61
	v_and_b32_e32 v57, 63, v57
	v_mul_lo_u16_e32 v87, 37, v57
	v_mul_lo_u16_sdwa v55, v87, v55 dst_sel:DWORD dst_unused:UNUSED_PAD src0_sel:BYTE_1 src1_sel:DWORD
	v_sub_u16_e32 v75, v61, v55
	v_lshrrev_b16_e32 v55, 2, v52
	v_mul_u32_u24_e32 v55, 0x4925, v55
	v_lshrrev_b32_e32 v89, 17, v55
	v_mul_lo_u16_e32 v55, 28, v89
	v_sub_u16_e32 v79, v52, v55
	v_lshrrev_b16_e32 v55, 2, v54
	v_mul_u32_u24_e32 v55, 0x4925, v55
	v_lshrrev_b32_e32 v91, 17, v55
	v_mul_lo_u16_e32 v55, 28, v91
	v_lshlrev_b32_e32 v86, 2, v54
	v_sub_u16_e32 v77, v54, v55
	v_lshrrev_b16_e32 v54, 2, v62
	v_mul_u32_u24_e32 v54, 0x4925, v54
	v_lshrrev_b32_e32 v93, 17, v54
	v_mul_lo_u16_e32 v54, 28, v93
	v_lshlrev_b32_e32 v82, 2, v62
	v_sub_u16_e32 v62, v62, v54
	v_lshrrev_b16_e32 v54, 2, v56
	v_mul_u32_u24_e32 v54, 0x4925, v54
	v_lshrrev_b32_e32 v95, 17, v54
	v_mul_lo_u16_e32 v54, 28, v95
	v_sub_u16_e32 v54, v56, v54
	v_lshlrev_b32_e32 v111, 3, v54
	v_lshrrev_b16_e32 v54, 2, v133
	v_mul_u32_u24_e32 v54, 0x4925, v54
	v_lshrrev_b32_e32 v129, 17, v54
	v_mul_lo_u16_e32 v54, 28, v129
	v_sub_u16_e32 v54, v133, v54
	v_lshlrev_b32_e32 v148, 3, v54
	v_add_u16_e32 v54, 0x1f8, v66
	v_lshrrev_b16_e32 v55, 2, v54
	v_mul_u32_u24_e32 v55, 0x4925, v55
	v_lshrrev_b16_e32 v120, 2, v76
	v_lshrrev_b32_e32 v149, 17, v55
	v_mul_u32_u24_e32 v122, 0x4925, v120
	v_mul_lo_u16_e32 v55, 28, v149
	v_lshrrev_b32_e32 v151, 17, v122
	v_sub_u16_e32 v54, v54, v55
	v_lshlrev_b32_e32 v62, 3, v62
	v_mul_lo_u16_e32 v122, 28, v151
	v_lshlrev_b32_e32 v150, 3, v54
	global_load_dwordx2 v[56:57], v148, s[8:9] offset:192
	global_load_dwordx2 v[54:55], v150, s[8:9] offset:192
	;; [unrolled: 1-line block ×3, first 2 shown]
	v_sub_u16_e32 v76, v76, v122
	v_lshlrev_b32_e32 v144, 3, v77
	v_lshlrev_b32_e32 v152, 3, v76
	global_load_dwordx2 v[76:77], v144, s[8:9] offset:192
	v_lshrrev_b16_e32 v122, 2, v74
	v_mul_u32_u24_e32 v122, 0x4925, v122
	v_lshrrev_b32_e32 v153, 17, v122
	v_mul_lo_u16_e32 v130, 28, v153
	v_lshlrev_b32_e32 v145, 3, v79
	global_load_dwordx2 v[122:123], v145, s[8:9] offset:192
	v_lshrrev_b16_e32 v79, 2, v78
	v_sub_u16_e32 v74, v74, v130
	v_mov_b32_e32 v130, 3
	v_mul_u32_u24_e32 v79, 0x4925, v79
	v_lshlrev_b32_sdwa v146, v130, v75 dst_sel:DWORD dst_unused:UNUSED_PAD src0_sel:DWORD src1_sel:BYTE_0
	v_lshrrev_b32_e32 v155, 17, v79
	v_lshlrev_b32_e32 v154, 3, v74
	global_load_dwordx2 v[74:75], v146, s[8:9] offset:192
	v_mul_lo_u16_e32 v79, 28, v155
	v_lshlrev_b32_sdwa v147, v130, v73 dst_sel:DWORD dst_unused:UNUSED_PAD src0_sel:DWORD src1_sel:BYTE_0
	v_sub_u16_e32 v131, v78, v79
	global_load_dwordx2 v[78:79], v147, s[8:9] offset:192
	v_lshlrev_b32_e32 v48, 2, v132
	v_mov_b32_e32 v85, 0
	v_lshlrev_b32_e32 v156, 3, v131
	v_lshlrev_b32_sdwa v157, v130, v71 dst_sel:DWORD dst_unused:UNUSED_PAD src0_sel:DWORD src1_sel:BYTE_0
	global_load_dwordx2 v[130:131], v152, s[8:9] offset:192
	global_load_dwordx2 v[132:133], v154, s[8:9] offset:192
	global_load_dwordx2 v[134:135], v156, s[8:9] offset:192
	global_load_dwordx2 v[136:137], v157, s[8:9] offset:192
	v_lshl_add_u64 v[118:119], v[84:85], 3, s[8:9]
	global_load_dwordx2 v[138:139], v111, s[8:9] offset:192
	s_nop 0
	global_load_dwordx2 v[118:119], v[118:119], off offset:192
	v_lshrrev_b16_e32 v71, 2, v58
	v_mul_u32_u24_e32 v71, 0x4925, v71
	v_lshrrev_b32_e32 v158, 17, v71
	v_mul_lo_u16_e32 v71, 28, v158
	v_sub_u16_e32 v58, v58, v71
	v_lshrrev_b16_e32 v71, 2, v60
	v_mul_u32_u24_e32 v71, 0x4925, v71
	v_lshrrev_b32_e32 v159, 17, v71
	v_mul_lo_u16_e32 v71, 28, v159
	v_sub_u16_e32 v60, v60, v71
	;; [unrolled: 5-line block ×3, first 2 shown]
	v_lshlrev_b32_e32 v161, 3, v70
	v_lshrrev_b16_e32 v70, 2, v72
	v_mul_u32_u24_e32 v70, 0x4925, v70
	v_lshrrev_b32_e32 v162, 17, v70
	v_mul_lo_u16_e32 v70, 28, v162
	v_lshlrev_b32_e32 v58, 3, v58
	v_sub_u16_e32 v70, v72, v70
	v_lshlrev_b32_e32 v60, 3, v60
	v_lshlrev_b32_e32 v163, 3, v70
	global_load_dwordx2 v[70:71], v58, s[8:9] offset:192
	global_load_dwordx2 v[72:73], v60, s[8:9] offset:192
	;; [unrolled: 1-line block ×4, first 2 shown]
	s_mov_b32 s5, 0x5040100
	s_movk_i32 s4, 0x1c0
	v_perm_b32 v89, v91, v89, s5
	v_pk_mul_lo_u16 v89, v89, s4 op_sel_hi:[1,0]
	v_mul_u32_u24_sdwa v83, v83, s4 dst_sel:DWORD dst_unused:UNUSED_PAD src0_sel:BYTE_1 src1_sel:DWORD
	v_and_b32_e32 v91, 0xffc0, v89
	v_lshrrev_b32_e32 v89, 16, v89
	v_mul_u32_u24_sdwa v87, v87, s4 dst_sel:DWORD dst_unused:UNUSED_PAD src0_sel:BYTE_1 src1_sel:DWORD
	v_add3_u32 v91, 0, v91, v145
	v_add3_u32 v89, 0, v89, v144
	;; [unrolled: 1-line block ×4, first 2 shown]
	v_mov_b32_e32 v164, 0x1c0
	v_cmp_lt_u32_e32 vcc, 27, v66
	v_lshlrev_b32_e32 v84, 3, v84
	v_mul_u32_u24_sdwa v51, v51, s4 dst_sel:DWORD dst_unused:UNUSED_PAD src0_sel:BYTE_1 src1_sel:DWORD
	v_cndmask_b32_e32 v164, 0, v164, vcc
	v_add3_u32 v84, 0, v164, v84
	v_add3_u32 v51, 0, v51, v157
	s_waitcnt lgkmcnt(0)
	; wave barrier
	s_waitcnt lgkmcnt(0)
	v_lshlrev_b32_e32 v50, 2, v66
	v_lshlrev_b32_e32 v92, 2, v59
	;; [unrolled: 1-line block ×4, first 2 shown]
	s_waitcnt vmcnt(14)
	v_pk_mul_f32 v[144:145], v[120:121], v[46:47] op_sel:[0,1]
	s_nop 0
	v_pk_fma_f32 v[146:147], v[120:121], v[46:47], v[144:145] op_sel:[0,0,1] op_sel_hi:[1,1,0] neg_lo:[0,0,1] neg_hi:[0,0,1]
	v_pk_fma_f32 v[46:47], v[120:121], v[46:47], v[144:145] op_sel:[0,0,1] op_sel_hi:[1,0,0]
	s_waitcnt vmcnt(13)
	v_pk_mul_f32 v[120:121], v[76:77], v[44:45] op_sel:[0,1]
	v_mov_b32_e32 v147, v47
	v_pk_fma_f32 v[144:145], v[76:77], v[44:45], v[120:121] op_sel:[0,0,1] op_sel_hi:[1,1,0] neg_lo:[0,0,1] neg_hi:[0,0,1]
	v_pk_fma_f32 v[44:45], v[76:77], v[44:45], v[120:121] op_sel:[0,0,1] op_sel_hi:[1,0,0]
	v_pk_add_f32 v[46:47], v[116:117], v[146:147] neg_lo:[0,1] neg_hi:[0,1]
	v_mov_b32_e32 v145, v45
	v_pk_add_f32 v[44:45], v[114:115], v[144:145] neg_lo:[0,1] neg_hi:[0,1]
	v_pk_fma_f32 v[116:117], v[116:117], 2.0, v[46:47] op_sel_hi:[1,0,1] neg_lo:[0,0,1] neg_hi:[0,0,1]
	v_pk_fma_f32 v[76:77], v[114:115], 2.0, v[44:45] op_sel_hi:[1,0,1] neg_lo:[0,0,1] neg_hi:[0,0,1]
	s_waitcnt vmcnt(12)
	v_pk_mul_f32 v[114:115], v[122:123], v[42:43] op_sel:[0,1]
	s_nop 0
	v_pk_fma_f32 v[120:121], v[122:123], v[42:43], v[114:115] op_sel:[0,0,1] op_sel_hi:[1,1,0] neg_lo:[0,0,1] neg_hi:[0,0,1]
	v_pk_fma_f32 v[42:43], v[122:123], v[42:43], v[114:115] op_sel:[0,0,1] op_sel_hi:[1,0,0]
	s_waitcnt vmcnt(11)
	v_pk_mul_f32 v[114:115], v[74:75], v[40:41] op_sel:[0,1]
	v_mov_b32_e32 v121, v43
	v_pk_add_f32 v[42:43], v[112:113], v[120:121] neg_lo:[0,1] neg_hi:[0,1]
	v_pk_fma_f32 v[120:121], v[74:75], v[40:41], v[114:115] op_sel:[0,0,1] op_sel_hi:[1,1,0] neg_lo:[0,0,1] neg_hi:[0,0,1]
	v_pk_fma_f32 v[40:41], v[74:75], v[40:41], v[114:115] op_sel:[0,0,1] op_sel_hi:[1,0,0]
	s_waitcnt vmcnt(10)
	v_pk_mul_f32 v[74:75], v[78:79], v[34:35] op_sel:[0,1]
	v_mov_b32_e32 v121, v41
	v_pk_fma_f32 v[114:115], v[78:79], v[34:35], v[74:75] op_sel:[0,0,1] op_sel_hi:[1,1,0] neg_lo:[0,0,1] neg_hi:[0,0,1]
	v_pk_fma_f32 v[34:35], v[78:79], v[34:35], v[74:75] op_sel:[0,0,1] op_sel_hi:[1,0,0]
	s_waitcnt vmcnt(6)
	v_pk_mul_f32 v[74:75], v[136:137], v[32:33] op_sel:[0,1]
	v_mov_b32_e32 v115, v35
	v_pk_fma_f32 v[78:79], v[136:137], v[32:33], v[74:75] op_sel:[0,0,1] op_sel_hi:[1,1,0] neg_lo:[0,0,1] neg_hi:[0,0,1]
	v_pk_fma_f32 v[32:33], v[136:137], v[32:33], v[74:75] op_sel:[0,0,1] op_sel_hi:[1,0,0]
	s_waitcnt vmcnt(4)
	v_pk_mul_f32 v[74:75], v[110:111], v[118:119] op_sel_hi:[0,1]
	v_mov_b32_e32 v79, v33
	v_pk_add_f32 v[32:33], v[30:31], v[78:79] neg_lo:[0,1] neg_hi:[0,1]
	v_pk_fma_f32 v[78:79], v[118:119], v[2:3], v[74:75] op_sel:[0,0,1] op_sel_hi:[1,1,0] neg_lo:[0,0,1] neg_hi:[0,0,1]
	v_pk_fma_f32 v[2:3], v[118:119], v[2:3], v[74:75] op_sel:[0,0,1] op_sel_hi:[1,0,0]
	v_pk_add_f32 v[40:41], v[38:39], v[120:121] neg_lo:[0,1] neg_hi:[0,1]
	v_mov_b32_e32 v79, v3
	v_pk_add_f32 v[2:3], v[28:29], v[78:79] neg_lo:[0,1] neg_hi:[0,1]
	v_pk_add_f32 v[34:35], v[36:37], v[114:115] neg_lo:[0,1] neg_hi:[0,1]
	v_pk_fma_f32 v[28:29], v[28:29], 2.0, v[2:3] op_sel_hi:[1,0,1] neg_lo:[0,0,1] neg_hi:[0,0,1]
	v_pk_fma_f32 v[112:113], v[112:113], 2.0, v[42:43] op_sel_hi:[1,0,1] neg_lo:[0,0,1] neg_hi:[0,0,1]
	;; [unrolled: 1-line block ×5, first 2 shown]
	ds_write2_b64 v84, v[28:29], v[2:3] offset1:28
	ds_write2_b64 v51, v[30:31], v[32:33] offset1:28
	;; [unrolled: 1-line block ×6, first 2 shown]
	v_perm_b32 v2, v95, v93, s5
	v_pk_mul_lo_u16 v2, v2, s4 op_sel_hi:[1,0]
	s_nop 0
	v_and_b32_e32 v3, 0xffc0, v2
	v_add3_u32 v3, 0, v3, v62
	v_lshrrev_b32_e32 v2, 16, v2
	ds_write2_b64 v3, v[116:117], v[46:47] offset1:28
	v_add3_u32 v30, 0, v2, v111
	v_pk_mul_f32 v[2:3], v[24:25], v[138:139] op_sel:[0,1]
	s_nop 0
	v_pk_fma_f32 v[28:29], v[24:25], v[138:139], v[2:3] op_sel:[0,0,1] op_sel_hi:[1,1,0] neg_lo:[0,0,1] neg_hi:[0,0,1]
	v_pk_fma_f32 v[2:3], v[24:25], v[138:139], v[2:3] op_sel:[0,0,1] op_sel_hi:[1,0,0]
	s_nop 0
	v_mov_b32_e32 v29, v3
	v_pk_add_f32 v[2:3], v[108:109], v[28:29] neg_lo:[0,1] neg_hi:[0,1]
	s_nop 0
	v_pk_fma_f32 v[24:25], v[108:109], 2.0, v[2:3] op_sel_hi:[1,0,1] neg_lo:[0,0,1] neg_hi:[0,0,1]
	ds_write2_b64 v30, v[24:25], v[2:3] offset1:28
	v_mul_u32_u24_e32 v2, 0x1c0, v129
	v_add3_u32 v28, 0, v2, v148
	v_pk_mul_f32 v[2:3], v[26:27], v[56:57] op_sel:[0,1]
	s_nop 0
	v_pk_fma_f32 v[24:25], v[26:27], v[56:57], v[2:3] op_sel:[0,0,1] op_sel_hi:[1,1,0] neg_lo:[0,0,1] neg_hi:[0,0,1]
	v_pk_fma_f32 v[2:3], v[26:27], v[56:57], v[2:3] op_sel:[0,0,1] op_sel_hi:[1,0,0]
	s_nop 0
	v_mov_b32_e32 v25, v3
	v_pk_add_f32 v[2:3], v[20:21], v[24:25] neg_lo:[0,1] neg_hi:[0,1]
	s_nop 0
	v_pk_fma_f32 v[20:21], v[20:21], 2.0, v[2:3] op_sel_hi:[1,0,1] neg_lo:[0,0,1] neg_hi:[0,0,1]
	ds_write2_b64 v28, v[20:21], v[2:3] offset1:28
	v_mul_u32_u24_e32 v2, 0x1c0, v149
	v_add3_u32 v24, 0, v2, v150
	v_pk_mul_f32 v[2:3], v[16:17], v[54:55] op_sel:[0,1]
	s_nop 0
	v_pk_fma_f32 v[20:21], v[16:17], v[54:55], v[2:3] op_sel:[0,0,1] op_sel_hi:[1,1,0] neg_lo:[0,0,1] neg_hi:[0,0,1]
	v_pk_fma_f32 v[2:3], v[16:17], v[54:55], v[2:3] op_sel:[0,0,1] op_sel_hi:[1,0,0]
	s_nop 0
	v_mov_b32_e32 v21, v3
	v_pk_add_f32 v[2:3], v[22:23], v[20:21] neg_lo:[0,1] neg_hi:[0,1]
	s_nop 0
	v_pk_fma_f32 v[16:17], v[22:23], 2.0, v[2:3] op_sel_hi:[1,0,1] neg_lo:[0,0,1] neg_hi:[0,0,1]
	ds_write2_b64 v24, v[16:17], v[2:3] offset1:28
	s_waitcnt vmcnt(3)
	v_pk_mul_f32 v[2:3], v[18:19], v[70:71] op_sel:[0,1]
	s_nop 0
	v_pk_fma_f32 v[16:17], v[18:19], v[70:71], v[2:3] op_sel:[0,0,1] op_sel_hi:[1,1,0] neg_lo:[0,0,1] neg_hi:[0,0,1]
	v_pk_fma_f32 v[2:3], v[18:19], v[70:71], v[2:3] op_sel:[0,0,1] op_sel_hi:[1,0,0]
	v_perm_b32 v18, v159, v158, s5
	v_mov_b32_e32 v17, v3
	v_pk_mul_lo_u16 v18, v18, s4 op_sel_hi:[1,0]
	v_pk_add_f32 v[2:3], v[106:107], v[16:17] neg_lo:[0,1] neg_hi:[0,1]
	v_and_b32_e32 v19, 0xffc0, v18
	v_pk_fma_f32 v[16:17], v[106:107], 2.0, v[2:3] op_sel_hi:[1,0,1] neg_lo:[0,0,1] neg_hi:[0,0,1]
	v_add3_u32 v19, 0, v19, v58
	ds_write2_b64 v19, v[16:17], v[2:3] offset1:28
	v_lshrrev_b32_e32 v2, 16, v18
	v_add3_u32 v18, 0, v2, v60
	s_waitcnt vmcnt(2)
	v_pk_mul_f32 v[2:3], v[12:13], v[72:73] op_sel:[0,1]
	s_nop 0
	v_pk_fma_f32 v[16:17], v[12:13], v[72:73], v[2:3] op_sel:[0,0,1] op_sel_hi:[1,1,0] neg_lo:[0,0,1] neg_hi:[0,0,1]
	v_pk_fma_f32 v[2:3], v[12:13], v[72:73], v[2:3] op_sel:[0,0,1] op_sel_hi:[1,0,0]
	s_nop 0
	v_mov_b32_e32 v17, v3
	v_pk_add_f32 v[2:3], v[104:105], v[16:17] neg_lo:[0,1] neg_hi:[0,1]
	s_nop 0
	v_pk_fma_f32 v[12:13], v[104:105], 2.0, v[2:3] op_sel_hi:[1,0,1] neg_lo:[0,0,1] neg_hi:[0,0,1]
	ds_write2_b64 v18, v[12:13], v[2:3] offset1:28
	s_waitcnt vmcnt(1)
	v_pk_mul_f32 v[2:3], v[14:15], v[140:141] op_sel:[0,1]
	s_nop 0
	v_pk_fma_f32 v[12:13], v[14:15], v[140:141], v[2:3] op_sel:[0,0,1] op_sel_hi:[1,1,0] neg_lo:[0,0,1] neg_hi:[0,0,1]
	v_pk_fma_f32 v[2:3], v[14:15], v[140:141], v[2:3] op_sel:[0,0,1] op_sel_hi:[1,0,0]
	v_perm_b32 v14, v162, v160, s5
	v_mov_b32_e32 v13, v3
	v_pk_mul_lo_u16 v14, v14, s4 op_sel_hi:[1,0]
	v_pk_add_f32 v[2:3], v[102:103], v[12:13] neg_lo:[0,1] neg_hi:[0,1]
	v_and_b32_e32 v15, 0xffc0, v14
	v_pk_fma_f32 v[12:13], v[102:103], 2.0, v[2:3] op_sel_hi:[1,0,1] neg_lo:[0,0,1] neg_hi:[0,0,1]
	v_add3_u32 v15, 0, v15, v161
	ds_write2_b64 v15, v[12:13], v[2:3] offset1:28
	v_lshrrev_b32_e32 v2, 16, v14
	v_add3_u32 v14, 0, v2, v163
	s_waitcnt vmcnt(0)
	v_pk_mul_f32 v[2:3], v[8:9], v[142:143] op_sel:[0,1]
	s_nop 0
	v_pk_fma_f32 v[12:13], v[8:9], v[142:143], v[2:3] op_sel:[0,0,1] op_sel_hi:[1,1,0] neg_lo:[0,0,1] neg_hi:[0,0,1]
	v_pk_fma_f32 v[2:3], v[8:9], v[142:143], v[2:3] op_sel:[0,0,1] op_sel_hi:[1,0,0]
	s_nop 0
	v_mov_b32_e32 v13, v3
	v_pk_add_f32 v[2:3], v[100:101], v[12:13] neg_lo:[0,1] neg_hi:[0,1]
	s_nop 0
	v_pk_fma_f32 v[8:9], v[100:101], 2.0, v[2:3] op_sel_hi:[1,0,1] neg_lo:[0,0,1] neg_hi:[0,0,1]
	ds_write2_b64 v14, v[8:9], v[2:3] offset1:28
	v_pk_mul_f32 v[2:3], v[10:11], v[130:131] op_sel:[0,1]
	s_nop 0
	v_pk_fma_f32 v[8:9], v[10:11], v[130:131], v[2:3] op_sel:[0,0,1] op_sel_hi:[1,1,0] neg_lo:[0,0,1] neg_hi:[0,0,1]
	v_pk_fma_f32 v[2:3], v[10:11], v[130:131], v[2:3] op_sel:[0,0,1] op_sel_hi:[1,0,0]
	v_perm_b32 v10, v153, v151, s5
	v_mov_b32_e32 v9, v3
	v_pk_mul_lo_u16 v10, v10, s4 op_sel_hi:[1,0]
	v_pk_add_f32 v[2:3], v[98:99], v[8:9] neg_lo:[0,1] neg_hi:[0,1]
	v_and_b32_e32 v11, 0xffc0, v10
	v_pk_fma_f32 v[8:9], v[98:99], 2.0, v[2:3] op_sel_hi:[1,0,1] neg_lo:[0,0,1] neg_hi:[0,0,1]
	v_add3_u32 v11, 0, v11, v152
	ds_write2_b64 v11, v[8:9], v[2:3] offset1:28
	v_lshrrev_b32_e32 v2, 16, v10
	v_add3_u32 v10, 0, v2, v154
	v_pk_mul_f32 v[2:3], v[4:5], v[132:133] op_sel:[0,1]
	s_nop 0
	v_pk_fma_f32 v[8:9], v[4:5], v[132:133], v[2:3] op_sel:[0,0,1] op_sel_hi:[1,1,0] neg_lo:[0,0,1] neg_hi:[0,0,1]
	v_pk_fma_f32 v[2:3], v[4:5], v[132:133], v[2:3] op_sel:[0,0,1] op_sel_hi:[1,0,0]
	s_nop 0
	v_mov_b32_e32 v9, v3
	v_pk_add_f32 v[2:3], v[96:97], v[8:9] neg_lo:[0,1] neg_hi:[0,1]
	s_nop 0
	v_pk_fma_f32 v[4:5], v[96:97], 2.0, v[2:3] op_sel_hi:[1,0,1] neg_lo:[0,0,1] neg_hi:[0,0,1]
	ds_write2_b64 v10, v[4:5], v[2:3] offset1:28
	v_mul_u32_u24_e32 v2, 0x1c0, v155
	v_add3_u32 v8, 0, v2, v156
	v_pk_mul_f32 v[2:3], v[6:7], v[134:135] op_sel:[0,1]
	s_nop 0
	v_pk_fma_f32 v[4:5], v[6:7], v[134:135], v[2:3] op_sel:[0,0,1] op_sel_hi:[1,1,0] neg_lo:[0,0,1] neg_hi:[0,0,1]
	v_pk_fma_f32 v[2:3], v[6:7], v[134:135], v[2:3] op_sel:[0,0,1] op_sel_hi:[1,0,0]
	s_nop 0
	v_mov_b32_e32 v5, v3
	v_pk_add_f32 v[2:3], v[0:1], v[4:5] neg_lo:[0,1] neg_hi:[0,1]
	s_nop 0
	v_pk_fma_f32 v[0:1], v[0:1], 2.0, v[2:3] op_sel_hi:[1,0,1] neg_lo:[0,0,1] neg_hi:[0,0,1]
	ds_write2_b64 v8, v[0:1], v[2:3] offset1:28
	s_and_saveexec_b64 s[4:5], s[2:3]
	s_cbranch_execz .LBB0_27
; %bb.26:
	v_add_u16_e32 v0, 0x3b8, v66
	v_lshrrev_b16_e32 v1, 2, v0
	v_mul_u32_u24_e32 v1, 0x4925, v1
	v_lshrrev_b32_e32 v1, 17, v1
	v_mul_lo_u16_e32 v1, 28, v1
	v_sub_u16_e32 v0, v0, v1
	v_lshlrev_b32_e32 v3, 3, v0
	global_load_dwordx2 v[0:1], v3, s[8:9] offset:192
	v_mov_b32_e32 v2, v81
	v_add_u32_e32 v6, 0, v3
	v_mov_b32_e32 v95, v49
	s_waitcnt vmcnt(0)
	v_pk_mul_f32 v[2:3], v[2:3], v[0:1] op_sel_hi:[0,1]
	v_pk_fma_f32 v[4:5], v[80:81], v[0:1], v[2:3] op_sel:[0,0,1] op_sel_hi:[1,1,0] neg_lo:[0,0,1] neg_hi:[0,0,1]
	v_pk_fma_f32 v[0:1], v[80:81], v[0:1], v[2:3] op_sel:[0,0,1] op_sel_hi:[0,1,0]
	v_mov_b32_e32 v5, v1
	v_pk_add_f32 v[0:1], v[94:95], v[4:5] neg_lo:[0,1] neg_hi:[0,1]
	v_add_u32_e32 v4, 0x3800, v6
	v_pk_fma_f32 v[2:3], v[94:95], 2.0, v[0:1] op_sel_hi:[1,0,1] neg_lo:[0,0,1] neg_hi:[0,0,1]
	ds_write2_b64 v4, v[2:3], v[0:1] offset0:112 offset1:140
.LBB0_27:
	s_or_b64 exec, exec, s[4:5]
	v_mul_u32_u24_e32 v0, 6, v66
	v_lshlrev_b32_e32 v0, 3, v0
	s_waitcnt lgkmcnt(0)
	; wave barrier
	s_waitcnt lgkmcnt(0)
	global_load_dwordx4 v[8:11], v0, s[8:9] offset:432
	global_load_dwordx4 v[4:7], v0, s[8:9] offset:416
	;; [unrolled: 1-line block ×3, first 2 shown]
	v_lshrrev_b16_e32 v0, 3, v52
	v_mov_b32_e32 v28, 56
	v_mul_u32_u24_e32 v0, 0x2493, v0
	v_mul_lo_u16_sdwa v0, v0, v28 dst_sel:DWORD dst_unused:UNUSED_PAD src0_sel:WORD_1 src1_sel:DWORD
	v_sub_u16_e32 v49, v52, v0
	v_mul_u32_u24_e32 v0, 6, v49
	v_lshlrev_b32_e32 v24, 3, v0
	global_load_dwordx4 v[20:23], v24, s[8:9] offset:448
	global_load_dwordx4 v[0:3], v24, s[8:9] offset:416
	;; [unrolled: 1-line block ×3, first 2 shown]
	v_lshrrev_b16_e32 v24, 3, v59
	v_add_u32_e32 v118, 0x2000, v124
	v_add_u32_e32 v30, 0x1c00, v124
	v_add_u32_e32 v29, 0x1400, v124
	v_lshrrev_b16_e32 v36, 3, v61
	v_and_b32_e32 v37, 31, v24
	ds_read_b64 v[54:55], v53
	v_add_u32_e32 v84, 0x2800, v124
	v_add_u32_e32 v117, 0x1800, v124
	;; [unrolled: 1-line block ×5, first 2 shown]
	ds_read_b64 v[44:45], v63
	ds_read_b64 v[46:47], v125
	;; [unrolled: 1-line block ×3, first 2 shown]
	ds_read2_b64 v[74:77], v118 offset0:96 offset1:152
	ds_read2_b64 v[78:81], v84 offset0:64 offset1:120
	;; [unrolled: 1-line block ×10, first 2 shown]
	v_and_b32_e32 v29, 31, v36
	v_mul_lo_u16_e32 v30, 37, v37
	v_mul_lo_u16_e32 v29, 37, v29
	v_mul_lo_u16_sdwa v30, v30, v28 dst_sel:DWORD dst_unused:UNUSED_PAD src0_sel:BYTE_1 src1_sel:DWORD
	v_mul_lo_u16_sdwa v28, v29, v28 dst_sel:DWORD dst_unused:UNUSED_PAD src0_sel:BYTE_1 src1_sel:DWORD
	v_sub_u16_e32 v29, v59, v30
	v_sub_u16_e32 v28, v61, v28
	v_and_b32_e32 v51, 0xff, v29
	v_and_b32_e32 v83, 0xff, v28
	v_mul_u32_u24_e32 v28, 6, v51
	v_lshlrev_b32_e32 v57, 3, v28
	s_waitcnt lgkmcnt(11)
	v_mov_b32_e32 v56, v47
	v_mov_b32_e32 v62, v45
	global_load_dwordx4 v[36:39], v57, s[8:9] offset:416
	global_load_dwordx4 v[58:61], v57, s[8:9] offset:432
	;; [unrolled: 1-line block ×3, first 2 shown]
	s_waitcnt lgkmcnt(9)
	v_mov_b32_e32 v63, v74
	s_waitcnt lgkmcnt(2)
	v_mov_b32_e32 v172, v107
	v_mov_b32_e32 v173, v78
	s_mov_b32 s14, 0x3eae86e6
	s_mov_b32 s15, 0xbf08b237
	;; [unrolled: 1-line block ×12, first 2 shown]
	v_lshl_add_u32 v49, v49, 3, 0
	v_mov_b32_e32 v93, v85
	v_mov_b32_e32 v91, v85
	s_waitcnt vmcnt(8)
	v_mul_f32_e32 v135, v75, v10
	s_waitcnt vmcnt(7)
	v_pk_mul_f32 v[72:73], v[94:95], v[6:7]
	v_mul_f32_e32 v57, v7, v45
	v_mul_f32_e32 v139, v77, v10
	v_pk_mul_f32 v[120:121], v[4:5], v[46:47] op_sel_hi:[1,0]
	v_mov_b32_e32 v131, v10
	v_mov_b32_e32 v10, v7
	;; [unrolled: 1-line block ×4, first 2 shown]
	v_mul_f32_e32 v137, v74, v11
	s_waitcnt vmcnt(6)
	v_mul_f32_e32 v74, v81, v13
	v_pk_mul_f32 v[102:103], v[98:99], v[12:13]
	v_mov_b32_e32 v130, v6
	v_fma_f32 v70, v6, v44, -v57
	v_pk_fma_f32 v[142:143], v[4:5], v[56:57], v[120:121] op_sel:[0,0,1] op_sel_hi:[1,1,0]
	v_pk_mul_f32 v[56:57], v[10:11], v[44:45]
	v_pk_fma_f32 v[144:145], v[94:95], v[6:7], v[72:73] neg_lo:[0,0,1] neg_hi:[0,0,1]
	v_mul_f32_e32 v71, v55, v8
	v_fma_f32 v122, v80, v12, -v74
	v_mov_b32_e32 v74, v103
	v_pk_fma_f32 v[148:149], v[6:7], v[62:63], v[56:57]
	v_mul_f32_e32 v145, v25, v8
	v_pk_fma_f32 v[62:63], v[130:131], v[62:63], v[56:57] neg_lo:[0,0,1] neg_hi:[0,0,1]
	v_mov_b32_e32 v56, v81
	v_mov_b32_e32 v103, v8
	;; [unrolled: 1-line block ×4, first 2 shown]
	v_mul_f32_e32 v123, v54, v9
	v_mov_b32_e32 v57, v54
	v_mov_b32_e32 v102, v12
	v_pk_mul_f32 v[54:55], v[80:81], v[8:9]
	v_mov_b32_e32 v62, v15
	v_pk_fma_f32 v[80:81], v[56:57], v[12:13], v[54:55]
	v_pk_fma_f32 v[54:55], v[56:57], v[102:103], v[54:55] neg_lo:[0,0,1] neg_hi:[0,0,1]
	s_waitcnt lgkmcnt(0)
	v_pk_mul_f32 v[56:57], v[108:109], v[14:15] op_sel_hi:[1,0]
	v_mov_b32_e32 v54, v15
	v_pk_fma_f32 v[150:151], v[108:109], v[54:55], v[56:57] op_sel:[0,0,1] op_sel_hi:[1,1,0]
	v_pk_fma_f32 v[152:153], v[108:109], v[62:63], v[56:57] op_sel:[0,0,1] op_sel_hi:[1,0,0] neg_lo:[1,0,0] neg_hi:[1,0,0]
	v_mov_b32_e32 v56, v95
	v_mov_b32_e32 v95, v77
	v_mul_f32_e32 v141, v76, v11
	v_pk_fma_f32 v[120:121], v[4:5], v[46:47], v[120:121] op_sel:[0,1,1] op_sel_hi:[1,1,0] neg_lo:[1,0,0] neg_hi:[1,0,0]
	v_mov_b32_e32 v57, v76
	v_pk_mul_f32 v[10:11], v[94:95], v[10:11]
	v_pk_fma_f32 v[146:147], v[98:99], v[12:13], v[74:75] neg_lo:[0,0,1] neg_hi:[0,0,1]
	v_add_u32_e32 v120, 0x800, v124
	v_pk_fma_f32 v[154:155], v[56:57], v[6:7], v[10:11]
	v_pk_fma_f32 v[156:157], v[56:57], v[130:131], v[10:11] neg_lo:[0,0,1] neg_hi:[0,0,1]
	v_mov_b32_e32 v10, v99
	v_mov_b32_e32 v99, v25
	v_mul_f32_e32 v87, v24, v9
	v_pk_mul_f32 v[56:57], v[98:99], v[8:9]
	ds_read2_b64 v[6:9], v120 offset0:80 offset1:136
	s_waitcnt vmcnt(4)
	v_pk_mul_f32 v[74:75], v[106:107], v[2:3]
	v_mov_b32_e32 v11, v24
	v_pk_mul_f32 v[44:45], v[114:115], v[20:21]
	v_mov_b32_e32 v74, v75
	v_pk_fma_f32 v[24:25], v[10:11], v[102:103], v[56:57] neg_lo:[0,0,1] neg_hi:[0,0,1]
	v_pk_fma_f32 v[98:99], v[10:11], v[12:13], v[56:57]
	v_pk_mul_f32 v[10:11], v[110:111], v[14:15] op_sel_hi:[1,0]
	v_mov_b32_e32 v72, v45
	v_mul_u32_u24_e32 v44, 6, v83
	v_pk_fma_f32 v[74:75], v[106:107], v[2:3], v[74:75] neg_lo:[0,0,1] neg_hi:[0,0,1]
	v_pk_fma_f32 v[158:159], v[110:111], v[54:55], v[10:11] op_sel:[0,0,1] op_sel_hi:[1,1,0]
	v_pk_fma_f32 v[14:15], v[110:111], v[62:63], v[10:11] op_sel:[0,0,1] op_sel_hi:[1,0,0] neg_lo:[1,0,0] neg_hi:[1,0,0]
	s_waitcnt lgkmcnt(0)
	v_pk_mul_f32 v[10:11], v[6:7], v[4:5] op_sel_hi:[1,0]
	v_lshlrev_b32_e32 v89, 3, v44
	v_pk_fma_f32 v[72:73], v[114:115], v[20:21], v[72:73] neg_lo:[0,0,1] neg_hi:[0,0,1]
	s_waitcnt vmcnt(3)
	v_mul_f32_e32 v75, v43, v16
	v_pk_fma_f32 v[160:161], v[6:7], v[4:5], v[10:11] op_sel:[0,1,1] op_sel_hi:[1,1,0]
	v_pk_fma_f32 v[162:163], v[6:7], v[4:5], v[10:11] op_sel:[0,1,1] op_sel_hi:[1,1,0] neg_lo:[1,0,0] neg_hi:[1,0,0]
	v_mov_b32_e32 v6, v115
	v_mov_b32_e32 v11, v16
	v_mov_b32_e32 v115, v43
	v_mov_b32_e32 v16, v21
	v_mov_b32_e32 v107, v79
	v_mul_f32_e32 v175, v79, v18
	v_mov_b32_e32 v43, v18
	v_mov_b32_e32 v18, v3
	global_load_dwordx4 v[44:47], v89, s[8:9] offset:448
	ds_read_b64 v[4:5], v124 offset:15232
	v_pk_mul_f32 v[12:13], v[114:115], v[16:17]
	v_mul_f32_e32 v177, v78, v19
	v_mul_f32_e32 v73, v42, v17
	v_pk_mul_f32 v[178:179], v[106:107], v[18:19]
	global_load_dwordx4 v[130:133], v89, s[8:9] offset:416
	global_load_dwordx4 v[16:19], v89, s[8:9] offset:432
	v_mov_b32_e32 v7, v42
	v_mov_b32_e32 v10, v20
	v_pk_fma_f32 v[164:165], v[6:7], v[20:21], v[12:13]
	v_pk_fma_f32 v[166:167], v[6:7], v[10:11], v[12:13] neg_lo:[0,0,1] neg_hi:[0,0,1]
	s_waitcnt lgkmcnt(0)
	v_pk_mul_f32 v[6:7], v[4:5], v[22:23] op_sel_hi:[1,0]
	v_mov_b32_e32 v10, v23
	v_mov_b32_e32 v12, v23
	s_waitcnt vmcnt(5)
	v_pk_mul_f32 v[20:21], v[96:97], v[38:39]
	v_pk_fma_f32 v[168:169], v[4:5], v[10:11], v[6:7] op_sel:[0,0,1] op_sel_hi:[1,1,0]
	v_pk_fma_f32 v[170:171], v[4:5], v[12:13], v[6:7] op_sel:[0,0,1] op_sel_hi:[1,0,0] neg_lo:[1,0,0] neg_hi:[1,0,0]
	s_waitcnt vmcnt(4)
	v_mul_f32_e32 v5, v33, v60
	v_mov_b32_e32 v4, v21
	s_waitcnt vmcnt(3)
	v_pk_mul_f32 v[10:11], v[100:101], v[28:29]
	v_pk_fma_f32 v[6:7], v[96:97], v[38:39], v[4:5] neg_lo:[0,0,1] neg_hi:[0,0,1]
	v_mov_b32_e32 v4, v11
	v_mul_f32_e32 v7, v27, v58
	v_pk_fma_f32 v[10:11], v[100:101], v[28:29], v[4:5] neg_lo:[0,0,1] neg_hi:[0,0,1]
	v_mov_b32_e32 v14, v101
	v_mov_b32_e32 v101, v27
	;; [unrolled: 1-line block ×4, first 2 shown]
	v_pk_mul_f32 v[22:23], v[100:101], v[58:59]
	v_mul_f32_e32 v11, v26, v59
	v_mov_b32_e32 v24, v97
	v_mov_b32_e32 v97, v33
	;; [unrolled: 1-line block ×6, first 2 shown]
	v_pk_mul_f32 v[56:57], v[96:97], v[60:61]
	v_mov_b32_e32 v152, v105
	v_mov_b32_e32 v156, v113
	;; [unrolled: 1-line block ×6, first 2 shown]
	v_pk_add_f32 v[96:97], v[134:135], v[136:137]
	v_pk_add_f32 v[100:101], v[70:71], v[122:123]
	;; [unrolled: 1-line block ×4, first 2 shown]
	v_pk_add_f32 v[78:79], v[142:143], v[150:151] neg_lo:[0,1] neg_hi:[0,1]
	v_pk_add_f32 v[80:81], v[148:149], v[80:81] neg_lo:[0,1] neg_hi:[0,1]
	v_mul_f32_e32 v13, v32, v61
	v_mov_b32_e32 v155, v157
	v_mov_b32_e32 v99, v25
	;; [unrolled: 1-line block ×12, first 2 shown]
	v_add_u32_e32 v121, 0x3800, v124
	v_mov_b32_e32 v15, v26
	v_mov_b32_e32 v20, v28
	v_pk_fma_f32 v[28:29], v[14:15], v[28:29], v[22:23]
	v_pk_fma_f32 v[14:15], v[14:15], v[20:21], v[22:23] neg_lo:[0,0,1] neg_hi:[0,0,1]
	v_pk_add_f32 v[26:27], v[6:7], v[10:11]
	v_mov_b32_e32 v29, v15
	v_mov_b32_e32 v7, v10
	;; [unrolled: 1-line block ×5, first 2 shown]
	s_waitcnt vmcnt(2)
	v_mov_b32_e32 v182, v44
	v_mov_b32_e32 v12, v47
	s_waitcnt vmcnt(1)
	v_pk_mul_f32 v[58:59], v[104:105], v[132:133]
	s_nop 0
	v_mov_b32_e32 v4, v59
	v_pk_mul_f32 v[58:59], v[112:113], v[44:45]
	v_pk_fma_f32 v[102:103], v[104:105], v[132:133], v[4:5] neg_lo:[0,0,1] neg_hi:[0,0,1]
	v_mov_b32_e32 v4, v59
	v_mov_b32_e32 v105, v35
	s_waitcnt vmcnt(0)
	v_mul_f32_e32 v109, v35, v18
	v_mov_b32_e32 v35, v18
	v_mov_b32_e32 v18, v133
	v_mul_f32_e32 v103, v41, v16
	v_pk_fma_f32 v[110:111], v[112:113], v[44:45], v[4:5] neg_lo:[0,0,1] neg_hi:[0,0,1]
	v_mov_b32_e32 v113, v41
	v_mov_b32_e32 v183, v16
	;; [unrolled: 1-line block ×3, first 2 shown]
	v_pk_mul_f32 v[180:181], v[104:105], v[18:19]
	v_pk_mul_f32 v[184:185], v[112:113], v[16:17]
	v_mul_f32_e32 v111, v40, v17
	v_mul_f32_e32 v115, v34, v19
	v_mov_b32_e32 v17, v70
	v_mov_b32_e32 v16, v97
	;; [unrolled: 1-line block ×4, first 2 shown]
	v_pk_add_f32 v[104:105], v[16:17], v[18:19] neg_lo:[0,1] neg_hi:[0,1]
	v_mov_b32_e32 v16, v55
	v_mov_b32_e32 v17, v94
	;; [unrolled: 1-line block ×4, first 2 shown]
	v_pk_add_f32 v[16:17], v[16:17], v[18:19]
	v_mov_b32_e32 v18, v78
	v_mov_b32_e32 v19, v81
	v_pk_add_f32 v[58:59], v[100:101], v[96:97]
	v_pk_add_f32 v[54:55], v[18:19], v[104:105] neg_lo:[0,1] neg_hi:[0,1]
	v_mov_b32_e32 v18, v104
	v_mov_b32_e32 v19, v79
	;; [unrolled: 1-line block ×4, first 2 shown]
	v_pk_add_f32 v[112:113], v[58:59], v[16:17]
	ds_read2_b64 v[58:61], v124 offset1:56
	v_pk_add_f32 v[18:19], v[18:19], v[80:81] neg_lo:[0,1] neg_hi:[0,1]
	v_mov_b32_e32 v17, v94
	v_pk_mul_f32 v[62:63], v[18:19], s[22:23]
	v_pk_add_f32 v[18:19], v[80:81], v[104:105]
	v_pk_add_f32 v[122:123], v[96:97], v[16:17] neg_lo:[0,1] neg_hi:[0,1]
	v_pk_add_f32 v[106:107], v[18:19], v[78:79]
	v_mov_b32_e32 v18, v16
	v_mov_b32_e32 v19, v76
	v_pk_add_f32 v[18:19], v[18:19], v[100:101] neg_lo:[0,1] neg_hi:[0,1]
	s_waitcnt lgkmcnt(0)
	v_pk_add_f32 v[70:71], v[58:59], v[112:113]
	v_pk_mul_f32 v[134:135], v[18:19], s[20:21]
	v_pk_fma_f32 v[58:59], v[112:113], s[16:17], v[70:71] op_sel_hi:[1,0,1] neg_lo:[1,0,0] neg_hi:[1,0,0]
	v_pk_fma_f32 v[16:17], v[122:123], s[18:19], v[134:135]
	v_mov_b32_e32 v101, v94
	v_mov_b32_e32 v97, v76
	v_pk_add_f32 v[18:19], v[16:17], v[58:59]
	v_pk_fma_f32 v[16:17], v[54:55], s[14:15], v[62:63]
	v_mov_b32_e32 v81, v105
	v_pk_add_f32 v[94:95], v[100:101], v[96:97] neg_lo:[0,1] neg_hi:[0,1]
	v_pk_mul_f32 v[54:55], v[54:55], s[14:15]
	v_pk_mul_f32 v[96:97], v[122:123], s[18:19]
	v_pk_add_f32 v[80:81], v[80:81], v[78:79] neg_lo:[0,1] neg_hi:[0,1]
	v_mov_b32_e32 v76, v96
	v_mov_b32_e32 v77, v135
	;; [unrolled: 1-line block ×5, first 2 shown]
	v_pk_fma_f32 v[76:77], v[94:95], s[12:13], v[76:77] op_sel_hi:[1,0,1] neg_lo:[1,0,1] neg_hi:[1,0,1]
	v_mov_b32_e32 v78, v54
	v_pk_fma_f32 v[94:95], v[94:95], s[12:13], v[134:135] op_sel_hi:[1,0,1] neg_lo:[0,0,1] neg_hi:[0,0,1]
	v_pk_fma_f32 v[54:55], v[80:81], s[4:5], v[62:63] op_sel_hi:[1,0,1] neg_lo:[0,0,1] neg_hi:[0,0,1]
	v_pk_fma_f32 v[112:113], v[106:107], s[2:3], v[16:17] op_sel_hi:[1,0,1]
	v_pk_fma_f32 v[78:79], v[80:81], s[4:5], v[78:79] op_sel_hi:[1,0,1] neg_lo:[1,0,1] neg_hi:[1,0,1]
	v_pk_add_f32 v[76:77], v[76:77], v[58:59]
	v_pk_add_f32 v[58:59], v[94:95], v[58:59]
	v_pk_fma_f32 v[54:55], v[106:107], s[2:3], v[54:55] op_sel_hi:[1,0,1]
	v_pk_add_f32 v[16:17], v[18:19], v[112:113]
	v_pk_add_f32 v[18:19], v[18:19], v[112:113] neg_lo:[0,1] neg_hi:[0,1]
	v_pk_fma_f32 v[100:101], v[106:107], s[2:3], v[78:79] op_sel_hi:[1,0,1]
	v_pk_add_f32 v[96:97], v[58:59], v[54:55] neg_lo:[0,1] neg_hi:[0,1]
	v_pk_add_f32 v[94:95], v[58:59], v[54:55]
	v_pk_add_f32 v[54:55], v[154:155], v[98:99]
	v_pk_add_f32 v[58:59], v[154:155], v[98:99] neg_lo:[0,1] neg_hi:[0,1]
	v_pk_add_f32 v[98:99], v[138:139], v[140:141]
	v_pk_add_f32 v[112:113], v[144:145], v[146:147]
	;; [unrolled: 1-line block ×3, first 2 shown]
	v_pk_add_f32 v[76:77], v[76:77], v[100:101] neg_lo:[0,1] neg_hi:[0,1]
	v_pk_add_f32 v[62:63], v[160:161], v[158:159]
	v_mov_b32_e32 v101, v144
	v_mov_b32_e32 v100, v99
	;; [unrolled: 1-line block ×4, first 2 shown]
	v_pk_add_f32 v[122:123], v[100:101], v[104:105] neg_lo:[0,1] neg_hi:[0,1]
	v_mov_b32_e32 v100, v25
	v_mov_b32_e32 v101, v54
	;; [unrolled: 1-line block ×4, first 2 shown]
	v_pk_add_f32 v[104:105], v[100:101], v[104:105]
	v_pk_add_f32 v[100:101], v[112:113], v[98:99]
	v_pk_add_f32 v[80:81], v[160:161], v[158:159] neg_lo:[0,1] neg_hi:[0,1]
	v_mov_b32_e32 v113, v101
	v_pk_add_f32 v[106:107], v[100:101], v[104:105]
	v_mov_b32_e32 v105, v62
	v_mov_b32_e32 v99, v101
	;; [unrolled: 1-line block ×6, first 2 shown]
	v_pk_add_f32 v[104:105], v[104:105], v[112:113] neg_lo:[0,1] neg_hi:[0,1]
	v_pk_add_f32 v[100:101], v[60:61], v[106:107]
	v_mov_b32_e32 v60, v80
	v_mov_b32_e32 v61, v59
	v_pk_add_f32 v[134:135], v[134:135], v[58:59] neg_lo:[0,1] neg_hi:[0,1]
	v_pk_add_f32 v[138:139], v[98:99], v[138:139] neg_lo:[0,1] neg_hi:[0,1]
	v_pk_mul_f32 v[140:141], v[104:105], s[20:21]
	v_pk_add_f32 v[60:61], v[60:61], v[122:123] neg_lo:[0,1] neg_hi:[0,1]
	v_pk_mul_f32 v[134:135], v[134:135], s[22:23]
	v_pk_fma_f32 v[142:143], v[106:107], s[16:17], v[100:101] op_sel_hi:[1,0,1] neg_lo:[1,0,0] neg_hi:[1,0,0]
	v_pk_fma_f32 v[104:105], v[138:139], s[18:19], v[140:141]
	v_pk_add_f32 v[136:137], v[58:59], v[122:123]
	v_pk_add_f32 v[106:107], v[104:105], v[142:143]
	v_pk_fma_f32 v[104:105], v[60:61], s[14:15], v[134:135]
	v_mov_b32_e32 v59, v123
	v_mov_b32_e32 v113, v54
	;; [unrolled: 1-line block ×3, first 2 shown]
	v_pk_mul_f32 v[60:61], v[60:61], s[14:15]
	v_pk_add_f32 v[58:59], v[58:59], v[80:81] neg_lo:[0,1] neg_hi:[0,1]
	v_pk_add_f32 v[54:55], v[112:113], v[98:99] neg_lo:[0,1] neg_hi:[0,1]
	v_mov_b32_e32 v98, v60
	v_mov_b32_e32 v99, v135
	;; [unrolled: 1-line block ×3, first 2 shown]
	v_pk_add_f32 v[136:137], v[136:137], v[80:81]
	v_pk_fma_f32 v[98:99], v[58:59], s[4:5], v[98:99] op_sel_hi:[1,0,1] neg_lo:[1,0,1] neg_hi:[1,0,1]
	v_pk_fma_f32 v[58:59], v[58:59], s[4:5], v[134:135] op_sel_hi:[1,0,1] neg_lo:[0,0,1] neg_hi:[0,0,1]
	v_pk_fma_f32 v[144:145], v[136:137], s[2:3], v[104:105] op_sel_hi:[1,0,1]
	v_pk_fma_f32 v[98:99], v[136:137], s[2:3], v[98:99] op_sel_hi:[1,0,1]
	;; [unrolled: 1-line block ×3, first 2 shown]
	ds_read2_b64 v[134:137], v120 offset0:192 offset1:248
	v_pk_mul_f32 v[62:63], v[138:139], s[18:19]
	v_mov_b32_e32 v81, v141
	v_mov_b32_e32 v80, v62
	;; [unrolled: 1-line block ×3, first 2 shown]
	v_pk_fma_f32 v[80:81], v[54:55], s[12:13], v[80:81] op_sel_hi:[1,0,1] neg_lo:[1,0,1] neg_hi:[1,0,1]
	v_pk_fma_f32 v[54:55], v[54:55], s[12:13], v[140:141] op_sel_hi:[1,0,1] neg_lo:[0,0,1] neg_hi:[0,0,1]
	v_pk_add_f32 v[80:81], v[80:81], v[142:143]
	v_pk_add_f32 v[54:55], v[54:55], v[142:143]
	v_mov_b32_e32 v4, v1
	v_pk_add_f32 v[138:139], v[54:55], v[58:59] neg_lo:[0,1] neg_hi:[0,1]
	v_pk_add_f32 v[140:141], v[54:55], v[58:59]
	v_pk_fma_f32 v[54:55], v[172:173], v[2:3], v[178:179]
	s_waitcnt lgkmcnt(0)
	v_pk_mul_f32 v[2:3], v[136:137], v[0:1] op_sel_hi:[1,0]
	v_pk_add_f32 v[122:123], v[80:81], v[98:99]
	v_pk_fma_f32 v[58:59], v[136:137], v[0:1], v[2:3] op_sel:[0,1,1] op_sel_hi:[1,1,0] neg_lo:[1,0,0] neg_hi:[1,0,0]
	v_pk_add_f32 v[112:113], v[80:81], v[98:99] neg_lo:[0,1] neg_hi:[0,1]
	v_pk_fma_f32 v[80:81], v[172:173], v[42:43], v[178:179] neg_lo:[0,0,1] neg_hi:[0,0,1]
	v_pk_fma_f32 v[2:3], v[136:137], v[4:5], v[2:3] op_sel:[0,0,1] op_sel_hi:[1,1,0]
	v_mov_b32_e32 v174, v59
	v_mov_b32_e32 v3, v59
	;; [unrolled: 1-line block ×3, first 2 shown]
	v_pk_add_f32 v[58:59], v[74:75], v[72:73]
	v_pk_add_f32 v[60:61], v[174:175], v[176:177]
	;; [unrolled: 1-line block ×4, first 2 shown]
	v_pk_add_f32 v[62:63], v[54:55], v[164:165] neg_lo:[0,1] neg_hi:[0,1]
	v_mov_b32_e32 v54, v61
	v_mov_b32_e32 v55, v74
	;; [unrolled: 1-line block ×4, first 2 shown]
	v_pk_add_f32 v[2:3], v[2:3], v[168:169] neg_lo:[0,1] neg_hi:[0,1]
	v_pk_add_f32 v[74:75], v[54:55], v[74:75] neg_lo:[0,1] neg_hi:[0,1]
	v_pk_mul_f32 v[54:55], v[134:135], v[130:131] op_sel_hi:[1,0]
	v_mov_b32_e32 v4, v131
	v_mov_b32_e32 v72, v167
	;; [unrolled: 1-line block ×5, first 2 shown]
	v_pk_fma_f32 v[136:137], v[134:135], v[4:5], v[54:55] op_sel:[0,0,1] op_sel_hi:[1,1,0]
	v_pk_fma_f32 v[134:135], v[134:135], v[130:131], v[54:55] op_sel:[0,1,1] op_sel_hi:[1,1,0] neg_lo:[1,0,0] neg_hi:[1,0,0]
	v_mov_b32_e32 v54, v2
	v_mov_b32_e32 v55, v63
	v_pk_add_f32 v[80:81], v[72:73], v[80:81]
	v_mov_b32_e32 v34, v132
	v_pk_add_f32 v[98:99], v[58:59], v[60:61]
	v_pk_add_f32 v[142:143], v[54:55], v[74:75] neg_lo:[0,1] neg_hi:[0,1]
	v_mov_b32_e32 v54, v74
	v_mov_b32_e32 v55, v3
	v_pk_fma_f32 v[146:147], v[152:153], v[34:35], v[180:181] neg_lo:[0,0,1] neg_hi:[0,0,1]
	v_mov_b32_e32 v34, v80
	v_mov_b32_e32 v35, v0
	;; [unrolled: 1-line block ×6, first 2 shown]
	v_pk_add_f32 v[54:55], v[54:55], v[62:63] neg_lo:[0,1] neg_hi:[0,1]
	v_pk_add_f32 v[34:35], v[34:35], v[58:59] neg_lo:[0,1] neg_hi:[0,1]
	;; [unrolled: 1-line block ×3, first 2 shown]
	v_pk_add_f32 v[130:131], v[98:99], v[80:81]
	v_pk_mul_f32 v[54:55], v[54:55], s[22:23]
	v_pk_add_f32 v[72:73], v[62:63], v[74:75]
	v_pk_add_f32 v[98:99], v[52:53], v[130:131]
	v_pk_mul_f32 v[80:81], v[34:35], s[20:21]
	v_pk_add_f32 v[72:73], v[72:73], v[2:3]
	v_pk_fma_f32 v[52:53], v[130:131], s[16:17], v[98:99] op_sel_hi:[1,0,1] neg_lo:[1,0,0] neg_hi:[1,0,0]
	v_pk_fma_f32 v[34:35], v[148:149], s[18:19], v[80:81]
	v_mov_b32_e32 v157, v40
	v_pk_fma_f32 v[40:41], v[142:143], s[14:15], v[54:55]
	v_pk_add_f32 v[130:131], v[34:35], v[52:53]
	v_pk_fma_f32 v[40:41], v[72:73], s[2:3], v[40:41] op_sel_hi:[1,0,1]
	v_pk_add_f32 v[104:105], v[106:107], v[144:145]
	v_pk_add_f32 v[106:107], v[106:107], v[144:145] neg_lo:[0,1] neg_hi:[0,1]
	v_pk_fma_f32 v[144:145], v[152:153], v[132:133], v[180:181]
	v_pk_add_f32 v[34:35], v[130:131], v[40:41]
	v_pk_add_f32 v[40:41], v[130:131], v[40:41] neg_lo:[0,1] neg_hi:[0,1]
	ds_read2_b64 v[130:133], v121 offset1:56
	v_pk_fma_f32 v[44:45], v[156:157], v[44:45], v[184:185]
	v_pk_fma_f32 v[150:151], v[156:157], v[182:183], v[184:185] neg_lo:[0,0,1] neg_hi:[0,0,1]
	v_mov_b32_e32 v4, v47
	v_mov_b32_e32 v145, v147
	s_waitcnt lgkmcnt(0)
	v_pk_mul_f32 v[152:153], v[132:133], v[46:47] op_sel_hi:[1,0]
	v_mov_b32_e32 v45, v151
	v_pk_fma_f32 v[46:47], v[132:133], v[4:5], v[152:153] op_sel:[0,0,1] op_sel_hi:[1,1,0]
	v_pk_fma_f32 v[132:133], v[132:133], v[12:13], v[152:153] op_sel:[0,0,1] op_sel_hi:[1,0,0] neg_lo:[1,0,0] neg_hi:[1,0,0]
	v_pk_add_f32 v[154:155], v[144:145], v[44:45]
	v_pk_add_f32 v[144:145], v[144:145], v[44:45] neg_lo:[0,1] neg_hi:[0,1]
	v_pk_mul_f32 v[44:45], v[8:9], v[36:37] op_sel_hi:[1,0]
	v_mov_b32_e32 v4, v37
	v_mov_b32_e32 v47, v133
	;; [unrolled: 1-line block ×3, first 2 shown]
	v_pk_fma_f32 v[132:133], v[8:9], v[4:5], v[44:45] op_sel:[0,0,1] op_sel_hi:[1,1,0]
	v_pk_fma_f32 v[8:9], v[8:9], v[36:37], v[44:45] op_sel:[0,1,1] op_sel_hi:[1,1,0] neg_lo:[1,0,0] neg_hi:[1,0,0]
	v_mov_b32_e32 v25, v32
	v_mov_b32_e32 v32, v38
	v_pk_mul_f32 v[20:21], v[130:131], v[30:31] op_sel_hi:[1,0]
	v_mov_b32_e32 v4, v31
	v_mov_b32_e32 v8, v31
	v_pk_fma_f32 v[38:39], v[24:25], v[38:39], v[56:57]
	v_pk_fma_f32 v[24:25], v[24:25], v[32:33], v[56:57] neg_lo:[0,0,1] neg_hi:[0,0,1]
	v_pk_fma_f32 v[22:23], v[130:131], v[4:5], v[20:21] op_sel:[0,0,1] op_sel_hi:[1,1,0]
	v_pk_fma_f32 v[20:21], v[130:131], v[8:9], v[20:21] op_sel:[0,0,1] op_sel_hi:[1,0,0] neg_lo:[1,0,0] neg_hi:[1,0,0]
	v_mov_b32_e32 v137, v135
	v_mov_b32_e32 v108, v135
	;; [unrolled: 1-line block ×7, first 2 shown]
	v_pk_add_f32 v[152:153], v[136:137], v[46:47]
	v_pk_add_f32 v[136:137], v[136:137], v[46:47] neg_lo:[0,1] neg_hi:[0,1]
	ds_read2_b64 v[44:47], v124 offset0:112 offset1:168
	v_pk_add_f32 v[36:37], v[108:109], v[114:115]
	v_pk_add_f32 v[108:109], v[102:103], v[110:111]
	;; [unrolled: 1-line block ×5, first 2 shown]
	v_mov_b32_e32 v103, v102
	v_mov_b32_e32 v102, v37
	;; [unrolled: 1-line block ×14, first 2 shown]
	v_pk_add_f32 v[102:103], v[102:103], v[110:111] neg_lo:[0,1] neg_hi:[0,1]
	v_pk_add_f32 v[146:147], v[150:151], v[146:147]
	v_pk_add_f32 v[150:151], v[108:109], v[36:37]
	v_pk_add_f32 v[22:23], v[132:133], v[22:23] neg_lo:[0,1] neg_hi:[0,1]
	v_pk_add_f32 v[28:29], v[38:39], v[28:29] neg_lo:[0,1] neg_hi:[0,1]
	;; [unrolled: 1-line block ×3, first 2 shown]
	v_pk_add_f32 v[38:39], v[26:27], v[4:5]
	v_pk_add_f32 v[14:15], v[14:15], v[24:25]
	v_mov_b32_e32 v114, v102
	v_mov_b32_e32 v115, v137
	;; [unrolled: 1-line block ×11, first 2 shown]
	v_pk_add_f32 v[114:115], v[114:115], v[144:145] neg_lo:[0,1] neg_hi:[0,1]
	v_pk_add_f32 v[156:157], v[156:157], v[108:109] neg_lo:[0,1] neg_hi:[0,1]
	v_mov_b32_e32 v37, v151
	v_pk_add_f32 v[150:151], v[150:151], v[146:147]
	v_mov_b32_e32 v147, v154
	v_mov_b32_e32 v8, v22
	;; [unrolled: 1-line block ×3, first 2 shown]
	v_pk_add_f32 v[12:13], v[12:13], v[28:29] neg_lo:[0,1] neg_hi:[0,1]
	v_pk_add_f32 v[24:25], v[24:25], v[26:27] neg_lo:[0,1] neg_hi:[0,1]
	v_mov_b32_e32 v5, v39
	v_mov_b32_e32 v132, v14
	;; [unrolled: 1-line block ×3, first 2 shown]
	v_pk_add_f32 v[14:15], v[38:39], v[14:15]
	v_pk_add_f32 v[110:111], v[110:111], v[102:103] neg_lo:[0,1] neg_hi:[0,1]
	v_pk_mul_f32 v[114:115], v[114:115], s[22:23]
	v_pk_add_f32 v[134:135], v[144:145], v[102:103]
	v_pk_add_f32 v[146:147], v[36:37], v[146:147] neg_lo:[0,1] neg_hi:[0,1]
	s_waitcnt lgkmcnt(0)
	v_pk_add_f32 v[32:33], v[46:47], v[150:151]
	v_pk_mul_f32 v[46:47], v[156:157], s[20:21]
	v_pk_add_f32 v[8:9], v[8:9], v[6:7] neg_lo:[0,1] neg_hi:[0,1]
	v_pk_mul_f32 v[12:13], v[12:13], s[22:23]
	v_pk_add_f32 v[20:21], v[28:29], v[6:7]
	v_pk_add_f32 v[132:133], v[4:5], v[132:133] neg_lo:[0,1] neg_hi:[0,1]
	v_pk_add_f32 v[38:39], v[44:45], v[14:15]
	v_pk_mul_f32 v[24:25], v[24:25], s[20:21]
	v_pk_add_f32 v[134:135], v[134:135], v[136:137]
	v_pk_fma_f32 v[56:57], v[150:151], s[16:17], v[32:33] op_sel_hi:[1,0,1] neg_lo:[1,0,0] neg_hi:[1,0,0]
	v_pk_fma_f32 v[150:151], v[146:147], s[18:19], v[46:47]
	v_pk_fma_f32 v[156:157], v[110:111], s[14:15], v[114:115]
	v_pk_mul_f32 v[10:11], v[8:9], s[14:15]
	v_pk_add_f32 v[20:21], v[20:21], v[22:23]
	v_pk_mul_f32 v[44:45], v[132:133], s[18:19]
	v_pk_fma_f32 v[14:15], v[14:15], s[16:17], v[38:39] op_sel_hi:[1,0,1] neg_lo:[1,0,0] neg_hi:[1,0,0]
	v_pk_fma_f32 v[132:133], v[132:133], s[18:19], v[24:25]
	v_pk_fma_f32 v[8:9], v[8:9], s[14:15], v[12:13]
	v_pk_add_f32 v[150:151], v[150:151], v[56:57]
	v_pk_fma_f32 v[156:157], v[134:135], s[2:3], v[156:157] op_sel_hi:[1,0,1]
	v_pk_add_f32 v[132:133], v[132:133], v[14:15]
	v_pk_fma_f32 v[8:9], v[20:21], s[2:3], v[8:9] op_sel_hi:[1,0,1]
	v_pk_add_f32 v[158:159], v[150:151], v[156:157]
	v_pk_add_f32 v[150:151], v[150:151], v[156:157] neg_lo:[0,1] neg_hi:[0,1]
	v_pk_add_f32 v[156:157], v[132:133], v[8:9]
	v_pk_add_f32 v[8:9], v[132:133], v[8:9] neg_lo:[0,1] neg_hi:[0,1]
	v_mov_b32_e32 v133, v19
	v_mov_b32_e32 v19, v17
	s_waitcnt lgkmcnt(0)
	; wave barrier
	v_mov_b32_e32 v132, v16
	ds_write2_b64 v120, v[18:19], v[100:101] offset0:80 offset1:136
	v_mov_b32_e32 v16, v104
	v_mov_b32_e32 v17, v107
	;; [unrolled: 1-line block ×4, first 2 shown]
	v_lshl_add_u32 v1, v51, 3, 0
	ds_write2_b64 v124, v[70:71], v[132:133] offset1:56
	v_mov_b32_e32 v71, v77
	v_mov_b32_e32 v133, v95
	;; [unrolled: 1-line block ×4, first 2 shown]
	v_add_u32_e32 v5, 0x400, v124
	ds_write2_b64 v120, v[16:17], v[18:19] offset0:192 offset1:248
	v_mov_b32_e32 v16, v138
	v_mov_b32_e32 v17, v141
	;; [unrolled: 1-line block ×5, first 2 shown]
	ds_write2_b64 v5, v[94:95], v[76:77] offset0:96 offset1:152
	ds_write2_b64 v119, v[16:17], v[140:141] offset0:48 offset1:104
	v_mov_b32_e32 v113, v123
	v_mov_b32_e32 v107, v105
	;; [unrolled: 1-line block ×4, first 2 shown]
	v_add_u32_e32 v9, 0x1800, v1
	v_mov_b32_e32 v29, v7
	v_mov_b32_e32 v27, v130
	;; [unrolled: 1-line block ×3, first 2 shown]
	ds_write2_b64 v124, v[70:71], v[132:133] offset0:112 offset1:168
	ds_write2_b64 v119, v[112:113], v[106:107] offset0:160 offset1:216
	;; [unrolled: 1-line block ×3, first 2 shown]
	v_pk_add_f32 v[6:7], v[28:29], v[22:23] neg_lo:[0,1] neg_hi:[0,1]
	v_pk_add_f32 v[4:5], v[26:27], v[4:5] neg_lo:[0,1] neg_hi:[0,1]
	v_mov_b32_e32 v16, v44
	v_mov_b32_e32 v17, v25
	;; [unrolled: 1-line block ×6, first 2 shown]
	v_pk_fma_f32 v[16:17], v[4:5], s[12:13], v[16:17] op_sel_hi:[1,0,1] neg_lo:[1,0,1] neg_hi:[1,0,1]
	v_pk_fma_f32 v[18:19], v[6:7], s[4:5], v[18:19] op_sel_hi:[1,0,1] neg_lo:[1,0,1] neg_hi:[1,0,1]
	;; [unrolled: 1-line block ×4, first 2 shown]
	v_pk_add_f32 v[16:17], v[16:17], v[14:15]
	v_pk_fma_f32 v[18:19], v[20:21], s[2:3], v[18:19] op_sel_hi:[1,0,1]
	v_pk_add_f32 v[4:5], v[4:5], v[14:15]
	v_pk_fma_f32 v[6:7], v[20:21], s[2:3], v[6:7] op_sel_hi:[1,0,1]
	v_pk_add_f32 v[22:23], v[16:17], v[18:19]
	v_pk_add_f32 v[16:17], v[16:17], v[18:19] neg_lo:[0,1] neg_hi:[0,1]
	v_pk_add_f32 v[10:11], v[4:5], v[6:7] neg_lo:[0,1] neg_hi:[0,1]
	v_pk_add_f32 v[4:5], v[4:5], v[6:7]
	v_mov_b32_e32 v18, v22
	v_mov_b32_e32 v19, v17
	;; [unrolled: 1-line block ×4, first 2 shown]
	v_lshl_add_u32 v43, v83, 3, 0
	ds_write2_b64 v9, v[18:19], v[6:7] offset0:128 offset1:184
	v_mov_b32_e32 v5, v11
	v_mov_b32_e32 v17, v23
	v_add_u32_e32 v6, 0x1c00, v1
	v_mov_b32_e32 v9, v157
	v_pk_mul_f32 v[110:111], v[110:111], s[14:15]
	v_pk_mul_f32 v[146:147], v[146:147], s[18:19]
	ds_write2_b64 v6, v[4:5], v[16:17] offset0:112 offset1:168
	ds_write_b64 v1, v[8:9] offset:8960
	v_mov_b32_e32 v4, v158
	v_mov_b32_e32 v5, v151
	v_add_u32_e32 v1, 0x2000, v43
	v_mov_b32_e32 v145, v103
	v_mov_b32_e32 v109, v154
	;; [unrolled: 1-line block ×3, first 2 shown]
	ds_write2_b64 v1, v[32:33], v[4:5] offset0:152 offset1:208
	v_pk_add_f32 v[4:5], v[144:145], v[136:137] neg_lo:[0,1] neg_hi:[0,1]
	v_pk_add_f32 v[6:7], v[108:109], v[36:37] neg_lo:[0,1] neg_hi:[0,1]
	v_mov_b32_e32 v8, v146
	v_mov_b32_e32 v9, v47
	v_mov_b32_e32 v10, v110
	v_mov_b32_e32 v11, v115
	v_mov_b32_e32 v47, v147
	v_mov_b32_e32 v115, v111
	v_pk_fma_f32 v[8:9], v[6:7], s[12:13], v[8:9] op_sel_hi:[1,0,1] neg_lo:[1,0,1] neg_hi:[1,0,1]
	v_pk_fma_f32 v[10:11], v[4:5], s[4:5], v[10:11] op_sel_hi:[1,0,1] neg_lo:[1,0,1] neg_hi:[1,0,1]
	;; [unrolled: 1-line block ×4, first 2 shown]
	v_pk_add_f32 v[8:9], v[8:9], v[56:57]
	v_pk_fma_f32 v[10:11], v[134:135], s[2:3], v[10:11] op_sel_hi:[1,0,1]
	v_pk_add_f32 v[6:7], v[6:7], v[56:57]
	v_pk_fma_f32 v[4:5], v[134:135], s[2:3], v[4:5] op_sel_hi:[1,0,1]
	v_pk_add_f32 v[12:13], v[8:9], v[10:11]
	v_pk_add_f32 v[8:9], v[8:9], v[10:11] neg_lo:[0,1] neg_hi:[0,1]
	v_pk_add_f32 v[14:15], v[6:7], v[4:5] neg_lo:[0,1] neg_hi:[0,1]
	v_pk_add_f32 v[4:5], v[6:7], v[4:5]
	v_mov_b32_e32 v11, v9
	v_mov_b32_e32 v7, v5
	v_add_u32_e32 v1, 0x2800, v43
	v_mov_b32_e32 v5, v15
	v_mov_b32_e32 v9, v13
	v_pk_mul_f32 v[142:143], v[142:143], s[14:15]
	v_pk_mul_f32 v[148:149], v[148:149], s[18:19]
	v_mov_b32_e32 v10, v12
	v_mov_b32_e32 v6, v14
	ds_write2_b64 v1, v[4:5], v[8:9] offset0:120 offset1:176
	v_mov_b32_e32 v4, v34
	v_mov_b32_e32 v5, v41
	v_add_u32_e32 v12, 0x3000, v49
	v_mov_b32_e32 v63, v75
	v_mov_b32_e32 v59, v42
	;; [unrolled: 1-line block ×3, first 2 shown]
	ds_write2_b64 v1, v[10:11], v[6:7] offset0:8 offset1:64
	ds_write2_b64 v12, v[98:99], v[4:5] offset0:32 offset1:88
	v_pk_add_f32 v[2:3], v[62:63], v[2:3] neg_lo:[0,1] neg_hi:[0,1]
	v_pk_add_f32 v[0:1], v[58:59], v[60:61] neg_lo:[0,1] neg_hi:[0,1]
	v_mov_b32_e32 v4, v148
	v_mov_b32_e32 v5, v81
	;; [unrolled: 1-line block ×6, first 2 shown]
	v_pk_fma_f32 v[4:5], v[0:1], s[12:13], v[4:5] op_sel_hi:[1,0,1] neg_lo:[1,0,1] neg_hi:[1,0,1]
	v_pk_fma_f32 v[6:7], v[2:3], s[4:5], v[6:7] op_sel_hi:[1,0,1] neg_lo:[1,0,1] neg_hi:[1,0,1]
	v_pk_fma_f32 v[0:1], v[0:1], s[12:13], v[80:81] op_sel_hi:[1,0,1] neg_lo:[0,0,1] neg_hi:[0,0,1]
	v_pk_fma_f32 v[2:3], v[2:3], s[4:5], v[54:55] op_sel_hi:[1,0,1] neg_lo:[0,0,1] neg_hi:[0,0,1]
	v_pk_add_f32 v[4:5], v[4:5], v[52:53]
	v_pk_fma_f32 v[6:7], v[72:73], s[2:3], v[6:7] op_sel_hi:[1,0,1]
	v_pk_add_f32 v[0:1], v[0:1], v[52:53]
	v_pk_fma_f32 v[2:3], v[72:73], s[2:3], v[2:3] op_sel_hi:[1,0,1]
	v_pk_add_f32 v[8:9], v[4:5], v[6:7]
	v_pk_add_f32 v[4:5], v[4:5], v[6:7] neg_lo:[0,1] neg_hi:[0,1]
	v_pk_add_f32 v[10:11], v[0:1], v[2:3] neg_lo:[0,1] neg_hi:[0,1]
	v_pk_add_f32 v[0:1], v[0:1], v[2:3]
	v_mov_b32_e32 v6, v8
	v_mov_b32_e32 v7, v5
	;; [unrolled: 1-line block ×4, first 2 shown]
	ds_write2_b64 v12, v[6:7], v[2:3] offset0:144 offset1:200
	v_mov_b32_e32 v1, v11
	v_mov_b32_e32 v5, v9
	v_add_u32_e32 v2, 0x3800, v49
	v_mov_b32_e32 v51, v85
	v_mov_b32_e32 v151, v159
	ds_write2_b64 v2, v[0:1], v[4:5] offset1:56
	v_mov_b32_e32 v41, v35
	v_lshl_add_u64 v[0:1], v[50:51], 3, s[8:9]
	ds_write_b64 v43, v[150:151] offset:12096
	ds_write_b64 v49, v[40:41] offset:15232
	s_waitcnt lgkmcnt(0)
	; wave barrier
	s_waitcnt lgkmcnt(0)
	global_load_dwordx4 v[60:63], v[0:1], off offset:3104
	global_load_dwordx4 v[56:59], v[0:1], off offset:3120
	v_mov_b32_e32 v49, v85
	v_lshl_add_u64 v[0:1], v[48:49], 3, s[8:9]
	global_load_dwordx4 v[52:55], v[0:1], off offset:3104
	global_load_dwordx4 v[48:51], v[0:1], off offset:3120
	v_lshl_add_u64 v[0:1], v[92:93], 3, s[8:9]
	global_load_dwordx4 v[44:47], v[0:1], off offset:3104
	global_load_dwordx4 v[40:43], v[0:1], off offset:3120
	v_lshl_add_u64 v[0:1], v[90:91], 3, s[8:9]
	ds_read_b64 v[78:79], v127
	ds_read_b64 v[76:77], v128
	global_load_dwordx4 v[28:31], v[0:1], off offset:3120
	global_load_dwordx4 v[36:39], v[0:1], off offset:3104
	v_lshl_add_u64 v[0:1], v[88:89], 3, s[8:9]
	global_load_dwordx4 v[20:23], v[0:1], off offset:3120
	global_load_dwordx4 v[32:35], v[0:1], off offset:3104
	v_lshl_add_u64 v[0:1], v[86:87], 3, s[8:9]
	global_load_dwordx4 v[12:15], v[0:1], off offset:3120
	global_load_dwordx4 v[24:27], v[0:1], off offset:3104
	v_mov_b32_e32 v83, v85
	v_lshl_add_u64 v[0:1], v[82:83], 3, s[8:9]
	global_load_dwordx4 v[4:7], v[0:1], off offset:3120
	global_load_dwordx4 v[8:11], v[0:1], off offset:3104
	ds_read2_b64 v[0:3], v124 offset1:56
	ds_read2_b64 v[80:83], v118 offset0:152 offset1:208
	v_add_u32_e32 v16, 0x2c00, v124
	ds_read2_b64 v[16:19], v16 offset0:104 offset1:160
	ds_read_b64 v[74:75], v126
	ds_read_b64 v[72:73], v125
	;; [unrolled: 1-line block ×3, first 2 shown]
	s_mov_b32 s4, 0x3f737871
	s_mov_b32 s8, 0x3f167918
	;; [unrolled: 1-line block ×3, first 2 shown]
	s_waitcnt vmcnt(13) lgkmcnt(7)
	v_pk_mul_f32 v[86:87], v[60:61], v[78:79] op_sel:[0,1]
	s_nop 0
	v_pk_fma_f32 v[88:89], v[60:61], v[78:79], v[86:87] op_sel:[0,0,1] op_sel_hi:[1,1,0] neg_lo:[0,0,1] neg_hi:[0,0,1]
	v_pk_fma_f32 v[60:61], v[60:61], v[78:79], v[86:87] op_sel:[0,0,1] op_sel_hi:[1,0,0]
	s_nop 0
	v_mov_b32_e32 v89, v61
	s_waitcnt lgkmcnt(6)
	v_pk_mul_f32 v[60:61], v[62:63], v[76:77] op_sel:[0,1]
	s_nop 0
	v_pk_fma_f32 v[86:87], v[62:63], v[76:77], v[60:61] op_sel:[0,0,1] op_sel_hi:[1,1,0] neg_lo:[0,0,1] neg_hi:[0,0,1]
	v_pk_fma_f32 v[60:61], v[62:63], v[76:77], v[60:61] op_sel:[0,0,1] op_sel_hi:[1,0,0]
	s_nop 0
	v_mov_b32_e32 v87, v61
	s_waitcnt vmcnt(12) lgkmcnt(4)
	v_pk_mul_f32 v[60:61], v[80:81], v[56:57] op_sel:[0,1]
	s_nop 0
	v_pk_fma_f32 v[90:91], v[80:81], v[56:57], v[60:61] op_sel:[0,0,1] op_sel_hi:[1,1,0] neg_lo:[0,0,1] neg_hi:[0,0,1]
	v_pk_fma_f32 v[56:57], v[80:81], v[56:57], v[60:61] op_sel:[0,0,1] op_sel_hi:[1,0,0]
	s_nop 0
	v_mov_b32_e32 v56, v59
	v_mov_b32_e32 v91, v57
	s_waitcnt lgkmcnt(3)
	v_pk_mul_f32 v[56:57], v[18:19], v[56:57] op_sel_hi:[1,0]
	s_nop 0
	v_pk_fma_f32 v[80:81], v[18:19], v[58:59], v[56:57] op_sel:[0,0,1] op_sel_hi:[1,1,0] neg_lo:[0,0,1] neg_hi:[0,0,1]
	v_pk_fma_f32 v[18:19], v[18:19], v[58:59], v[56:57] op_sel:[0,0,1] op_sel_hi:[1,0,0]
	ds_read2_b64 v[56:59], v120 offset0:192 offset1:248
	v_mov_b32_e32 v81, v19
	v_pk_add_f32 v[18:19], v[0:1], v[88:89]
	ds_read2_b64 v[60:63], v117 offset0:72 offset1:128
	ds_read2_b64 v[76:79], v116 offset0:88 offset1:144
	v_pk_add_f32 v[18:19], v[18:19], v[86:87]
	s_nop 0
	v_pk_add_f32 v[18:19], v[18:19], v[90:91]
	s_nop 0
	v_pk_add_f32 v[92:93], v[18:19], v[80:81]
	s_waitcnt vmcnt(11) lgkmcnt(2)
	v_pk_mul_f32 v[18:19], v[56:57], v[52:53] op_sel:[0,1]
	s_nop 0
	v_pk_fma_f32 v[94:95], v[56:57], v[52:53], v[18:19] op_sel:[0,0,1] op_sel_hi:[1,1,0] neg_lo:[0,0,1] neg_hi:[0,0,1]
	v_pk_fma_f32 v[18:19], v[56:57], v[52:53], v[18:19] op_sel:[0,0,1] op_sel_hi:[1,0,0]
	s_nop 0
	v_mov_b32_e32 v18, v55
	v_mov_b32_e32 v95, v19
	s_waitcnt lgkmcnt(1)
	v_pk_mul_f32 v[18:19], v[60:61], v[18:19] op_sel_hi:[1,0]
	s_nop 0
	v_pk_fma_f32 v[96:97], v[60:61], v[54:55], v[18:19] op_sel:[0,0,1] op_sel_hi:[1,1,0] neg_lo:[0,0,1] neg_hi:[0,0,1]
	v_pk_fma_f32 v[18:19], v[60:61], v[54:55], v[18:19] op_sel:[0,0,1] op_sel_hi:[1,0,0]
	s_nop 0
	v_mov_b32_e32 v97, v19
	s_waitcnt vmcnt(10)
	v_pk_mul_f32 v[18:19], v[82:83], v[48:49] op_sel:[0,1]
	s_nop 0
	v_pk_fma_f32 v[60:61], v[82:83], v[48:49], v[18:19] op_sel:[0,0,1] op_sel_hi:[1,1,0] neg_lo:[0,0,1] neg_hi:[0,0,1]
	v_pk_fma_f32 v[18:19], v[82:83], v[48:49], v[18:19] op_sel:[0,0,1] op_sel_hi:[1,0,0]
	s_nop 0
	v_mov_b32_e32 v18, v51
	v_mov_b32_e32 v61, v19
	s_waitcnt lgkmcnt(0)
	v_pk_mul_f32 v[18:19], v[76:77], v[18:19] op_sel_hi:[1,0]
	s_nop 0
	v_pk_fma_f32 v[82:83], v[76:77], v[50:51], v[18:19] op_sel:[0,0,1] op_sel_hi:[1,1,0] neg_lo:[0,0,1] neg_hi:[0,0,1]
	v_pk_fma_f32 v[18:19], v[76:77], v[50:51], v[18:19] op_sel:[0,0,1] op_sel_hi:[1,0,0]
	ds_read2_b64 v[48:51], v124 offset0:112 offset1:168
	ds_read2_b64 v[52:55], v84 offset0:8 offset1:64
	v_mov_b32_e32 v83, v19
	v_pk_add_f32 v[18:19], v[2:3], v[94:95]
	s_nop 0
	v_pk_add_f32 v[18:19], v[18:19], v[96:97]
	s_nop 0
	;; [unrolled: 2-line block ×3, first 2 shown]
	v_pk_add_f32 v[76:77], v[18:19], v[82:83]
	s_waitcnt vmcnt(9)
	v_pk_mul_f32 v[18:19], v[58:59], v[44:45] op_sel:[0,1]
	s_nop 0
	v_pk_fma_f32 v[98:99], v[58:59], v[44:45], v[18:19] op_sel:[0,0,1] op_sel_hi:[1,1,0] neg_lo:[0,0,1] neg_hi:[0,0,1]
	v_pk_fma_f32 v[18:19], v[58:59], v[44:45], v[18:19] op_sel:[0,0,1] op_sel_hi:[1,0,0]
	s_nop 0
	v_mov_b32_e32 v18, v47
	v_mov_b32_e32 v99, v19
	v_pk_mul_f32 v[18:19], v[62:63], v[18:19] op_sel_hi:[1,0]
	s_nop 0
	v_pk_fma_f32 v[100:101], v[62:63], v[46:47], v[18:19] op_sel:[0,0,1] op_sel_hi:[1,1,0] neg_lo:[0,0,1] neg_hi:[0,0,1]
	v_pk_fma_f32 v[18:19], v[62:63], v[46:47], v[18:19] op_sel:[0,0,1] op_sel_hi:[1,0,0]
	ds_read2_b64 v[44:47], v117 offset0:184 offset1:240
	v_mov_b32_e32 v101, v19
	s_waitcnt vmcnt(8) lgkmcnt(1)
	v_pk_mul_f32 v[18:19], v[52:53], v[40:41] op_sel:[0,1]
	s_nop 0
	v_pk_fma_f32 v[62:63], v[52:53], v[40:41], v[18:19] op_sel:[0,0,1] op_sel_hi:[1,1,0] neg_lo:[0,0,1] neg_hi:[0,0,1]
	v_pk_fma_f32 v[18:19], v[52:53], v[40:41], v[18:19] op_sel:[0,0,1] op_sel_hi:[1,0,0]
	s_nop 0
	v_mov_b32_e32 v18, v43
	v_mov_b32_e32 v63, v19
	v_pk_mul_f32 v[18:19], v[78:79], v[18:19] op_sel_hi:[1,0]
	s_nop 0
	v_pk_fma_f32 v[52:53], v[78:79], v[42:43], v[18:19] op_sel:[0,0,1] op_sel_hi:[1,1,0] neg_lo:[0,0,1] neg_hi:[0,0,1]
	v_pk_fma_f32 v[18:19], v[78:79], v[42:43], v[18:19] op_sel:[0,0,1] op_sel_hi:[1,0,0]
	ds_read2_b64 v[40:43], v119 offset0:48 offset1:104
	v_mov_b32_e32 v53, v19
	v_pk_add_f32 v[18:19], v[48:49], v[98:99]
	s_nop 0
	v_pk_add_f32 v[18:19], v[18:19], v[100:101]
	s_nop 0
	;; [unrolled: 2-line block ×3, first 2 shown]
	v_pk_add_f32 v[78:79], v[18:19], v[52:53]
	v_add_u32_e32 v18, 0x3400, v124
	ds_read2_b64 v[56:59], v18 offset0:72 offset1:128
	s_waitcnt vmcnt(6) lgkmcnt(1)
	v_pk_mul_f32 v[18:19], v[40:41], v[36:37] op_sel:[0,1]
	s_nop 0
	v_pk_fma_f32 v[102:103], v[40:41], v[36:37], v[18:19] op_sel:[0,0,1] op_sel_hi:[1,1,0] neg_lo:[0,0,1] neg_hi:[0,0,1]
	v_pk_fma_f32 v[18:19], v[40:41], v[36:37], v[18:19] op_sel:[0,0,1] op_sel_hi:[1,0,0]
	s_nop 0
	v_mov_b32_e32 v18, v39
	v_mov_b32_e32 v103, v19
	v_pk_mul_f32 v[18:19], v[44:45], v[18:19] op_sel_hi:[1,0]
	s_nop 0
	v_pk_fma_f32 v[104:105], v[44:45], v[38:39], v[18:19] op_sel:[0,0,1] op_sel_hi:[1,1,0] neg_lo:[0,0,1] neg_hi:[0,0,1]
	v_pk_fma_f32 v[18:19], v[44:45], v[38:39], v[18:19] op_sel:[0,0,1] op_sel_hi:[1,0,0]
	ds_read2_b64 v[36:39], v84 offset0:120 offset1:176
	v_mov_b32_e32 v105, v19
	v_pk_mul_f32 v[18:19], v[54:55], v[28:29] op_sel:[0,1]
	s_nop 0
	v_pk_fma_f32 v[106:107], v[54:55], v[28:29], v[18:19] op_sel:[0,0,1] op_sel_hi:[1,1,0] neg_lo:[0,0,1] neg_hi:[0,0,1]
	v_pk_fma_f32 v[18:19], v[54:55], v[28:29], v[18:19] op_sel:[0,0,1] op_sel_hi:[1,0,0]
	s_nop 0
	v_mov_b32_e32 v18, v31
	v_mov_b32_e32 v107, v19
	s_waitcnt lgkmcnt(1)
	v_pk_mul_f32 v[18:19], v[56:57], v[18:19] op_sel_hi:[1,0]
	s_nop 0
	v_pk_fma_f32 v[54:55], v[56:57], v[30:31], v[18:19] op_sel:[0,0,1] op_sel_hi:[1,1,0] neg_lo:[0,0,1] neg_hi:[0,0,1]
	v_pk_fma_f32 v[18:19], v[56:57], v[30:31], v[18:19] op_sel:[0,0,1] op_sel_hi:[1,0,0]
	s_nop 0
	v_mov_b32_e32 v55, v19
	v_pk_add_f32 v[18:19], v[50:51], v[102:103]
	s_nop 0
	v_pk_add_f32 v[18:19], v[18:19], v[104:105]
	s_nop 0
	;; [unrolled: 2-line block ×3, first 2 shown]
	v_pk_add_f32 v[56:57], v[18:19], v[54:55]
	s_waitcnt vmcnt(4)
	v_pk_mul_f32 v[18:19], v[42:43], v[32:33] op_sel:[0,1]
	s_nop 0
	v_pk_fma_f32 v[28:29], v[42:43], v[32:33], v[18:19] op_sel:[0,0,1] op_sel_hi:[1,1,0] neg_lo:[0,0,1] neg_hi:[0,0,1]
	v_pk_fma_f32 v[18:19], v[42:43], v[32:33], v[18:19] op_sel:[0,0,1] op_sel_hi:[1,0,0]
	s_nop 0
	v_mov_b32_e32 v18, v35
	v_mov_b32_e32 v29, v19
	v_pk_mul_f32 v[18:19], v[46:47], v[18:19] op_sel_hi:[1,0]
	s_nop 0
	v_pk_fma_f32 v[30:31], v[46:47], v[34:35], v[18:19] op_sel:[0,0,1] op_sel_hi:[1,1,0] neg_lo:[0,0,1] neg_hi:[0,0,1]
	v_pk_fma_f32 v[18:19], v[46:47], v[34:35], v[18:19] op_sel:[0,0,1] op_sel_hi:[1,0,0]
	ds_read2_b64 v[32:35], v119 offset0:160 offset1:216
	v_mov_b32_e32 v31, v19
	s_waitcnt lgkmcnt(1)
	v_pk_mul_f32 v[18:19], v[36:37], v[20:21] op_sel:[0,1]
	ds_read2_b64 v[40:43], v118 offset0:40 offset1:96
	ds_read2_b64 v[44:47], v121 offset0:56 offset1:112
	v_pk_fma_f32 v[108:109], v[36:37], v[20:21], v[18:19] op_sel:[0,0,1] op_sel_hi:[1,1,0] neg_lo:[0,0,1] neg_hi:[0,0,1]
	v_pk_fma_f32 v[18:19], v[36:37], v[20:21], v[18:19] op_sel:[0,0,1] op_sel_hi:[1,0,0]
	s_waitcnt vmcnt(2) lgkmcnt(2)
	v_pk_mul_f32 v[20:21], v[32:33], v[24:25] op_sel:[0,1]
	v_mov_b32_e32 v18, v23
	v_mov_b32_e32 v109, v19
	v_pk_mul_f32 v[18:19], v[58:59], v[18:19] op_sel_hi:[1,0]
	s_waitcnt lgkmcnt(0)
	v_pk_fma_f32 v[36:37], v[58:59], v[22:23], v[18:19] op_sel:[0,0,1] op_sel_hi:[1,1,0] neg_lo:[0,0,1] neg_hi:[0,0,1]
	v_pk_fma_f32 v[18:19], v[58:59], v[22:23], v[18:19] op_sel:[0,0,1] op_sel_hi:[1,0,0]
	; wave barrier
	s_nop 0
	v_mov_b32_e32 v37, v19
	v_pk_add_f32 v[18:19], v[74:75], v[28:29]
	ds_write2_b64 v124, v[92:93], v[76:77] offset1:56
	v_pk_add_f32 v[18:19], v[18:19], v[30:31]
	v_pk_add_f32 v[76:77], v[82:83], v[60:61] neg_lo:[0,1] neg_hi:[0,1]
	v_pk_add_f32 v[18:19], v[18:19], v[108:109]
	ds_write2_b64 v124, v[78:79], v[56:57] offset0:112 offset1:168
	v_pk_add_f32 v[58:59], v[18:19], v[36:37]
	v_pk_fma_f32 v[18:19], v[32:33], v[24:25], v[20:21] op_sel:[0,0,1] op_sel_hi:[1,1,0] neg_lo:[0,0,1] neg_hi:[0,0,1]
	v_pk_fma_f32 v[20:21], v[32:33], v[24:25], v[20:21] op_sel:[0,0,1] op_sel_hi:[1,0,0]
	v_pk_mul_f32 v[24:25], v[38:39], v[12:13] op_sel:[0,1]
	v_mov_b32_e32 v20, v27
	v_pk_mul_f32 v[22:23], v[40:41], v[20:21] op_sel_hi:[1,0]
	v_mov_b32_e32 v19, v21
	v_pk_fma_f32 v[20:21], v[40:41], v[26:27], v[22:23] op_sel:[0,0,1] op_sel_hi:[1,1,0] neg_lo:[0,0,1] neg_hi:[0,0,1]
	v_pk_fma_f32 v[22:23], v[40:41], v[26:27], v[22:23] op_sel:[0,0,1] op_sel_hi:[1,0,0]
	s_waitcnt vmcnt(0)
	v_pk_mul_f32 v[26:27], v[34:35], v[8:9] op_sel:[0,1]
	v_mov_b32_e32 v21, v23
	v_pk_fma_f32 v[22:23], v[38:39], v[12:13], v[24:25] op_sel:[0,0,1] op_sel_hi:[1,1,0] neg_lo:[0,0,1] neg_hi:[0,0,1]
	v_pk_fma_f32 v[12:13], v[38:39], v[12:13], v[24:25] op_sel:[0,0,1] op_sel_hi:[1,0,0]
	v_pk_add_f32 v[40:41], v[88:89], v[86:87] neg_lo:[0,1] neg_hi:[0,1]
	v_mov_b32_e32 v12, v15
	v_mov_b32_e32 v23, v13
	v_pk_mul_f32 v[12:13], v[44:45], v[12:13] op_sel_hi:[1,0]
	s_nop 0
	v_pk_fma_f32 v[24:25], v[44:45], v[14:15], v[12:13] op_sel:[0,0,1] op_sel_hi:[1,1,0] neg_lo:[0,0,1] neg_hi:[0,0,1]
	v_pk_fma_f32 v[12:13], v[44:45], v[14:15], v[12:13] op_sel:[0,0,1] op_sel_hi:[1,0,0]
	v_pk_add_f32 v[44:45], v[90:91], v[80:81] neg_lo:[0,1] neg_hi:[0,1]
	v_mov_b32_e32 v25, v13
	v_pk_add_f32 v[12:13], v[72:73], v[18:19]
	s_nop 0
	v_pk_add_f32 v[12:13], v[12:13], v[20:21]
	s_nop 0
	;; [unrolled: 2-line block ×3, first 2 shown]
	v_pk_add_f32 v[14:15], v[12:13], v[24:25]
	v_pk_fma_f32 v[12:13], v[34:35], v[8:9], v[26:27] op_sel:[0,0,1] op_sel_hi:[1,1,0] neg_lo:[0,0,1] neg_hi:[0,0,1]
	v_pk_fma_f32 v[8:9], v[34:35], v[8:9], v[26:27] op_sel:[0,0,1] op_sel_hi:[1,0,0]
	v_pk_add_f32 v[34:35], v[86:87], v[90:91] neg_lo:[0,1] neg_hi:[0,1]
	v_mov_b32_e32 v8, v11
	v_pk_mul_f32 v[26:27], v[42:43], v[8:9] op_sel_hi:[1,0]
	v_mov_b32_e32 v13, v9
	v_pk_fma_f32 v[8:9], v[42:43], v[10:11], v[26:27] op_sel:[0,0,1] op_sel_hi:[1,1,0] neg_lo:[0,0,1] neg_hi:[0,0,1]
	v_pk_fma_f32 v[10:11], v[42:43], v[10:11], v[26:27] op_sel:[0,0,1] op_sel_hi:[1,0,0]
	v_pk_mul_f32 v[26:27], v[16:17], v[4:5] op_sel:[0,1]
	v_mov_b32_e32 v9, v11
	v_pk_fma_f32 v[10:11], v[16:17], v[4:5], v[26:27] op_sel:[0,0,1] op_sel_hi:[1,1,0] neg_lo:[0,0,1] neg_hi:[0,0,1]
	v_pk_fma_f32 v[4:5], v[16:17], v[4:5], v[26:27] op_sel:[0,0,1] op_sel_hi:[1,0,0]
	v_pk_add_f32 v[26:27], v[88:89], v[80:81] neg_lo:[0,1] neg_hi:[0,1]
	v_mov_b32_e32 v4, v7
	v_pk_mul_f32 v[16:17], v[46:47], v[4:5] op_sel_hi:[1,0]
	v_mov_b32_e32 v11, v5
	v_pk_fma_f32 v[4:5], v[46:47], v[6:7], v[16:17] op_sel:[0,0,1] op_sel_hi:[1,1,0] neg_lo:[0,0,1] neg_hi:[0,0,1]
	v_pk_fma_f32 v[6:7], v[46:47], v[6:7], v[16:17] op_sel:[0,0,1] op_sel_hi:[1,0,0]
	v_pk_add_f32 v[16:17], v[86:87], v[90:91]
	v_pk_mul_f32 v[32:33], v[26:27], s[4:5] op_sel_hi:[1,0]
	v_pk_fma_f32 v[16:17], v[16:17], 0.5, v[0:1] op_sel_hi:[1,0,1] neg_lo:[1,0,0] neg_hi:[1,0,0]
	v_pk_add_f32 v[42:43], v[80:81], v[90:91] neg_lo:[0,1] neg_hi:[0,1]
	v_pk_mul_f32 v[38:39], v[34:35], s[8:9] op_sel_hi:[1,0]
	v_pk_add_f32 v[40:41], v[40:41], v[42:43]
	v_pk_add_f32 v[42:43], v[16:17], v[32:33] op_sel:[0,1] op_sel_hi:[1,0]
	v_pk_add_f32 v[16:17], v[16:17], v[32:33] op_sel:[0,1] op_sel_hi:[1,0] neg_lo:[0,1] neg_hi:[0,1]
	v_pk_add_f32 v[32:33], v[42:43], v[38:39] op_sel:[0,1] op_sel_hi:[1,0]
	v_pk_add_f32 v[42:43], v[88:89], v[80:81]
	v_pk_mul_f32 v[34:35], v[34:35], s[4:5] op_sel_hi:[1,0]
	v_pk_fma_f32 v[0:1], v[42:43], 0.5, v[0:1] op_sel_hi:[1,0,1] neg_lo:[1,0,0] neg_hi:[1,0,0]
	v_pk_add_f32 v[42:43], v[86:87], v[88:89] neg_lo:[0,1] neg_hi:[0,1]
	v_pk_mul_f32 v[26:27], v[26:27], s[8:9] op_sel_hi:[1,0]
	v_pk_add_f32 v[42:43], v[42:43], v[44:45]
	v_pk_add_f32 v[44:45], v[0:1], v[34:35] op_sel:[0,1] op_sel_hi:[1,0] neg_lo:[0,1] neg_hi:[0,1]
	v_pk_add_f32 v[0:1], v[0:1], v[34:35] op_sel:[0,1] op_sel_hi:[1,0]
	v_pk_add_f32 v[16:17], v[16:17], v[38:39] op_sel:[0,1] op_sel_hi:[1,0] neg_lo:[0,1] neg_hi:[0,1]
	v_pk_add_f32 v[0:1], v[0:1], v[26:27] op_sel:[0,1] op_sel_hi:[1,0] neg_lo:[0,1] neg_hi:[0,1]
	v_pk_add_f32 v[26:27], v[44:45], v[26:27] op_sel:[0,1] op_sel_hi:[1,0]
	v_mov_b32_e32 v38, v32
	v_mov_b32_e32 v39, v17
	;; [unrolled: 1-line block ×6, first 2 shown]
	v_pk_add_f32 v[26:27], v[96:97], v[60:61]
	v_pk_add_f32 v[32:33], v[94:95], v[82:83] neg_lo:[0,1] neg_hi:[0,1]
	v_pk_fma_f32 v[38:39], v[40:41], s[2:3], v[38:39] op_sel_hi:[1,0,1]
	v_pk_fma_f32 v[34:35], v[42:43], s[2:3], v[34:35] op_sel_hi:[1,0,1]
	;; [unrolled: 1-line block ×4, first 2 shown]
	v_pk_fma_f32 v[26:27], v[26:27], 0.5, v[2:3] op_sel_hi:[1,0,1] neg_lo:[1,0,0] neg_hi:[1,0,0]
	v_pk_mul_f32 v[40:41], v[32:33], s[4:5] op_sel_hi:[1,0]
	v_pk_add_f32 v[42:43], v[96:97], v[60:61] neg_lo:[0,1] neg_hi:[0,1]
	v_pk_add_f32 v[46:47], v[94:95], v[96:97] neg_lo:[0,1] neg_hi:[0,1]
	v_pk_mul_f32 v[44:45], v[42:43], s[8:9] op_sel_hi:[1,0]
	v_pk_add_f32 v[46:47], v[46:47], v[76:77]
	v_pk_add_f32 v[76:77], v[26:27], v[40:41] op_sel:[0,1] op_sel_hi:[1,0]
	v_pk_add_f32 v[26:27], v[26:27], v[40:41] op_sel:[0,1] op_sel_hi:[1,0] neg_lo:[0,1] neg_hi:[0,1]
	v_pk_add_f32 v[40:41], v[76:77], v[44:45] op_sel:[0,1] op_sel_hi:[1,0]
	v_pk_add_f32 v[26:27], v[26:27], v[44:45] op_sel:[0,1] op_sel_hi:[1,0] neg_lo:[0,1] neg_hi:[0,1]
	v_mov_b32_e32 v44, v40
	v_mov_b32_e32 v45, v27
	v_pk_fma_f32 v[44:45], v[46:47], s[2:3], v[44:45] op_sel_hi:[1,0,1]
	ds_write2_b64 v120, v[38:39], v[44:45] offset0:136 offset1:192
	v_pk_add_f32 v[38:39], v[94:95], v[82:83]
	v_pk_add_f32 v[44:45], v[60:61], v[82:83] neg_lo:[0,1] neg_hi:[0,1]
	v_pk_fma_f32 v[2:3], v[38:39], 0.5, v[2:3] op_sel_hi:[1,0,1] neg_lo:[1,0,0] neg_hi:[1,0,0]
	v_pk_add_f32 v[38:39], v[96:97], v[94:95] neg_lo:[0,1] neg_hi:[0,1]
	v_pk_mul_f32 v[42:43], v[42:43], s[4:5] op_sel_hi:[1,0]
	v_pk_add_f32 v[38:39], v[38:39], v[44:45]
	v_pk_mul_f32 v[32:33], v[32:33], s[8:9] op_sel_hi:[1,0]
	v_pk_add_f32 v[44:45], v[2:3], v[42:43] op_sel:[0,1] op_sel_hi:[1,0] neg_lo:[0,1] neg_hi:[0,1]
	v_pk_add_f32 v[2:3], v[2:3], v[42:43] op_sel:[0,1] op_sel_hi:[1,0]
	v_mov_b32_e32 v27, v41
	v_pk_add_f32 v[2:3], v[2:3], v[32:33] op_sel:[0,1] op_sel_hi:[1,0] neg_lo:[0,1] neg_hi:[0,1]
	v_pk_add_f32 v[32:33], v[44:45], v[32:33] op_sel:[0,1] op_sel_hi:[1,0]
	v_mov_b32_e32 v43, v3
	v_mov_b32_e32 v3, v33
	v_pk_fma_f32 v[2:3], v[38:39], s[2:3], v[2:3] op_sel_hi:[1,0,1]
	v_mov_b32_e32 v42, v32
	ds_write2_b64 v118, v[0:1], v[2:3] offset0:152 offset1:208
	v_pk_fma_f32 v[0:1], v[46:47], s[2:3], v[26:27] op_sel_hi:[1,0,1]
	v_pk_fma_f32 v[42:43], v[38:39], s[2:3], v[42:43] op_sel_hi:[1,0,1]
	ds_write2_b64 v116, v[16:17], v[0:1] offset0:32 offset1:88
	v_pk_add_f32 v[0:1], v[100:101], v[62:63]
	v_pk_add_f32 v[2:3], v[98:99], v[52:53] neg_lo:[0,1] neg_hi:[0,1]
	ds_write2_b64 v117, v[34:35], v[42:43] offset0:16 offset1:72
	v_pk_fma_f32 v[0:1], v[0:1], 0.5, v[48:49] op_sel_hi:[1,0,1] neg_lo:[1,0,0] neg_hi:[1,0,0]
	v_pk_mul_f32 v[16:17], v[2:3], s[4:5] op_sel_hi:[1,0]
	v_pk_add_f32 v[26:27], v[100:101], v[62:63] neg_lo:[0,1] neg_hi:[0,1]
	v_pk_add_f32 v[34:35], v[98:99], v[100:101] neg_lo:[0,1] neg_hi:[0,1]
	;; [unrolled: 1-line block ×3, first 2 shown]
	v_pk_mul_f32 v[32:33], v[26:27], s[8:9] op_sel_hi:[1,0]
	v_pk_add_f32 v[34:35], v[34:35], v[38:39]
	v_pk_add_f32 v[38:39], v[0:1], v[16:17] op_sel:[0,1] op_sel_hi:[1,0]
	v_pk_add_f32 v[0:1], v[0:1], v[16:17] op_sel:[0,1] op_sel_hi:[1,0] neg_lo:[0,1] neg_hi:[0,1]
	v_pk_add_f32 v[16:17], v[38:39], v[32:33] op_sel:[0,1] op_sel_hi:[1,0]
	v_pk_add_f32 v[38:39], v[98:99], v[52:53]
	v_pk_add_f32 v[40:41], v[100:101], v[98:99] neg_lo:[0,1] neg_hi:[0,1]
	v_pk_fma_f32 v[38:39], v[38:39], 0.5, v[48:49] op_sel_hi:[1,0,1] neg_lo:[1,0,0] neg_hi:[1,0,0]
	v_pk_add_f32 v[42:43], v[62:63], v[52:53] neg_lo:[0,1] neg_hi:[0,1]
	v_pk_mul_f32 v[26:27], v[26:27], s[4:5] op_sel_hi:[1,0]
	v_pk_add_f32 v[40:41], v[40:41], v[42:43]
	v_pk_mul_f32 v[2:3], v[2:3], s[8:9] op_sel_hi:[1,0]
	v_pk_add_f32 v[42:43], v[38:39], v[26:27] op_sel:[0,1] op_sel_hi:[1,0] neg_lo:[0,1] neg_hi:[0,1]
	v_pk_add_f32 v[26:27], v[38:39], v[26:27] op_sel:[0,1] op_sel_hi:[1,0]
	v_pk_add_f32 v[0:1], v[0:1], v[32:33] op_sel:[0,1] op_sel_hi:[1,0] neg_lo:[0,1] neg_hi:[0,1]
	v_pk_add_f32 v[26:27], v[26:27], v[2:3] op_sel:[0,1] op_sel_hi:[1,0] neg_lo:[0,1] neg_hi:[0,1]
	v_pk_add_f32 v[2:3], v[42:43], v[2:3] op_sel:[0,1] op_sel_hi:[1,0]
	v_mov_b32_e32 v39, v27
	v_mov_b32_e32 v27, v3
	v_mov_b32_e32 v32, v16
	v_mov_b32_e32 v33, v1
	v_mov_b32_e32 v38, v2
	v_pk_fma_f32 v[2:3], v[40:41], s[2:3], v[26:27] op_sel_hi:[1,0,1]
	v_mov_b32_e32 v1, v17
	v_pk_add_f32 v[16:17], v[104:105], v[106:107]
	v_pk_add_f32 v[26:27], v[102:103], v[54:55] neg_lo:[0,1] neg_hi:[0,1]
	v_pk_fma_f32 v[32:33], v[34:35], s[2:3], v[32:33] op_sel_hi:[1,0,1]
	v_pk_fma_f32 v[38:39], v[40:41], s[2:3], v[38:39] op_sel_hi:[1,0,1]
	;; [unrolled: 1-line block ×3, first 2 shown]
	v_pk_fma_f32 v[16:17], v[16:17], 0.5, v[50:51] op_sel_hi:[1,0,1] neg_lo:[1,0,0] neg_hi:[1,0,0]
	v_pk_mul_f32 v[34:35], v[26:27], s[4:5] op_sel_hi:[1,0]
	v_pk_add_f32 v[40:41], v[104:105], v[106:107] neg_lo:[0,1] neg_hi:[0,1]
	v_pk_add_f32 v[44:45], v[102:103], v[104:105] neg_lo:[0,1] neg_hi:[0,1]
	v_pk_add_f32 v[46:47], v[54:55], v[106:107] neg_lo:[0,1] neg_hi:[0,1]
	v_pk_mul_f32 v[42:43], v[40:41], s[8:9] op_sel_hi:[1,0]
	v_pk_add_f32 v[44:45], v[44:45], v[46:47]
	v_pk_add_f32 v[46:47], v[16:17], v[34:35] op_sel:[0,1] op_sel_hi:[1,0]
	v_pk_add_f32 v[16:17], v[16:17], v[34:35] op_sel:[0,1] op_sel_hi:[1,0] neg_lo:[0,1] neg_hi:[0,1]
	v_pk_add_f32 v[34:35], v[46:47], v[42:43] op_sel:[0,1] op_sel_hi:[1,0]
	v_pk_add_f32 v[16:17], v[16:17], v[42:43] op_sel:[0,1] op_sel_hi:[1,0] neg_lo:[0,1] neg_hi:[0,1]
	v_mov_b32_e32 v42, v34
	v_mov_b32_e32 v43, v17
	v_pk_fma_f32 v[42:43], v[44:45], s[2:3], v[42:43] op_sel_hi:[1,0,1]
	v_add_u32_e32 v17, 0xc00, v124
	ds_write2_b64 v17, v[32:33], v[42:43] offset0:120 offset1:176
	v_pk_add_f32 v[32:33], v[102:103], v[54:55]
	v_pk_add_f32 v[42:43], v[104:105], v[102:103] neg_lo:[0,1] neg_hi:[0,1]
	v_pk_fma_f32 v[32:33], v[32:33], 0.5, v[50:51] op_sel_hi:[1,0,1] neg_lo:[1,0,0] neg_hi:[1,0,0]
	v_pk_add_f32 v[46:47], v[106:107], v[54:55] neg_lo:[0,1] neg_hi:[0,1]
	v_pk_mul_f32 v[40:41], v[40:41], s[4:5] op_sel_hi:[1,0]
	v_pk_add_f32 v[42:43], v[42:43], v[46:47]
	v_pk_mul_f32 v[26:27], v[26:27], s[8:9] op_sel_hi:[1,0]
	v_pk_add_f32 v[46:47], v[32:33], v[40:41] op_sel:[0,1] op_sel_hi:[1,0] neg_lo:[0,1] neg_hi:[0,1]
	v_pk_add_f32 v[32:33], v[32:33], v[40:41] op_sel:[0,1] op_sel_hi:[1,0]
	v_mov_b32_e32 v17, v35
	v_pk_add_f32 v[32:33], v[32:33], v[26:27] op_sel:[0,1] op_sel_hi:[1,0] neg_lo:[0,1] neg_hi:[0,1]
	v_pk_add_f32 v[26:27], v[46:47], v[26:27] op_sel:[0,1] op_sel_hi:[1,0]
	v_mov_b32_e32 v41, v33
	v_mov_b32_e32 v33, v27
	;; [unrolled: 1-line block ×3, first 2 shown]
	v_pk_fma_f32 v[26:27], v[42:43], s[2:3], v[32:33] op_sel_hi:[1,0,1]
	v_pk_fma_f32 v[40:41], v[42:43], s[2:3], v[40:41] op_sel_hi:[1,0,1]
	ds_write2_b64 v84, v[2:3], v[26:27] offset0:8 offset1:64
	v_pk_fma_f32 v[2:3], v[44:45], s[2:3], v[16:17] op_sel_hi:[1,0,1]
	ds_write2_b64 v117, v[38:39], v[40:41] offset0:128 offset1:184
	ds_write2_b64 v116, v[0:1], v[2:3] offset0:144 offset1:200
	ds_write_b64 v126, v[58:59]
	v_pk_add_f32 v[0:1], v[30:31], v[108:109]
	v_pk_add_f32 v[2:3], v[28:29], v[36:37] neg_lo:[0,1] neg_hi:[0,1]
	v_pk_fma_f32 v[0:1], v[0:1], 0.5, v[74:75] op_sel_hi:[1,0,1] neg_lo:[1,0,0] neg_hi:[1,0,0]
	v_pk_mul_f32 v[16:17], v[2:3], s[4:5] op_sel_hi:[1,0]
	v_pk_add_f32 v[26:27], v[30:31], v[108:109] neg_lo:[0,1] neg_hi:[0,1]
	v_pk_add_f32 v[34:35], v[28:29], v[30:31] neg_lo:[0,1] neg_hi:[0,1]
	;; [unrolled: 1-line block ×3, first 2 shown]
	v_pk_mul_f32 v[32:33], v[26:27], s[8:9] op_sel_hi:[1,0]
	v_pk_add_f32 v[34:35], v[34:35], v[38:39]
	v_pk_add_f32 v[38:39], v[0:1], v[16:17] op_sel:[0,1] op_sel_hi:[1,0]
	v_pk_add_f32 v[0:1], v[0:1], v[16:17] op_sel:[0,1] op_sel_hi:[1,0] neg_lo:[0,1] neg_hi:[0,1]
	v_pk_add_f32 v[16:17], v[38:39], v[32:33] op_sel:[0,1] op_sel_hi:[1,0]
	v_pk_add_f32 v[0:1], v[0:1], v[32:33] op_sel:[0,1] op_sel_hi:[1,0] neg_lo:[0,1] neg_hi:[0,1]
	v_mov_b32_e32 v32, v16
	v_mov_b32_e32 v33, v1
	v_pk_fma_f32 v[32:33], v[34:35], s[2:3], v[32:33] op_sel_hi:[1,0,1]
	ds_write_b64 v126, v[32:33] offset:3136
	v_pk_add_f32 v[32:33], v[28:29], v[36:37]
	v_pk_add_f32 v[28:29], v[30:31], v[28:29] neg_lo:[0,1] neg_hi:[0,1]
	v_pk_fma_f32 v[32:33], v[32:33], 0.5, v[74:75] op_sel_hi:[1,0,1] neg_lo:[1,0,0] neg_hi:[1,0,0]
	v_pk_add_f32 v[30:31], v[108:109], v[36:37] neg_lo:[0,1] neg_hi:[0,1]
	v_pk_mul_f32 v[26:27], v[26:27], s[4:5] op_sel_hi:[1,0]
	v_pk_add_f32 v[28:29], v[28:29], v[30:31]
	v_pk_mul_f32 v[2:3], v[2:3], s[8:9] op_sel_hi:[1,0]
	v_pk_add_f32 v[30:31], v[32:33], v[26:27] op_sel:[0,1] op_sel_hi:[1,0] neg_lo:[0,1] neg_hi:[0,1]
	v_pk_add_f32 v[26:27], v[32:33], v[26:27] op_sel:[0,1] op_sel_hi:[1,0]
	v_mov_b32_e32 v1, v17
	v_pk_add_f32 v[26:27], v[26:27], v[2:3] op_sel:[0,1] op_sel_hi:[1,0] neg_lo:[0,1] neg_hi:[0,1]
	v_pk_add_f32 v[2:3], v[30:31], v[2:3] op_sel:[0,1] op_sel_hi:[1,0]
	v_mov_b32_e32 v31, v27
	v_mov_b32_e32 v30, v2
	;; [unrolled: 1-line block ×3, first 2 shown]
	v_pk_fma_f32 v[30:31], v[28:29], s[2:3], v[30:31] op_sel_hi:[1,0,1]
	v_pk_fma_f32 v[2:3], v[28:29], s[2:3], v[26:27] op_sel_hi:[1,0,1]
	;; [unrolled: 1-line block ×3, first 2 shown]
	ds_write_b64 v126, v[30:31] offset:6272
	ds_write_b64 v126, v[2:3] offset:9408
	;; [unrolled: 1-line block ×3, first 2 shown]
	ds_write_b64 v125, v[14:15]
	v_pk_add_f32 v[0:1], v[20:21], v[22:23]
	v_pk_add_f32 v[2:3], v[18:19], v[24:25] neg_lo:[0,1] neg_hi:[0,1]
	v_pk_fma_f32 v[0:1], v[0:1], 0.5, v[72:73] op_sel_hi:[1,0,1] neg_lo:[1,0,0] neg_hi:[1,0,0]
	v_pk_mul_f32 v[14:15], v[2:3], s[4:5] op_sel_hi:[1,0]
	v_pk_add_f32 v[16:17], v[20:21], v[22:23] neg_lo:[0,1] neg_hi:[0,1]
	v_pk_add_f32 v[28:29], v[18:19], v[20:21] neg_lo:[0,1] neg_hi:[0,1]
	;; [unrolled: 1-line block ×3, first 2 shown]
	v_pk_mul_f32 v[26:27], v[16:17], s[8:9] op_sel_hi:[1,0]
	v_pk_add_f32 v[28:29], v[28:29], v[30:31]
	v_pk_add_f32 v[30:31], v[0:1], v[14:15] op_sel:[0,1] op_sel_hi:[1,0]
	v_pk_add_f32 v[0:1], v[0:1], v[14:15] op_sel:[0,1] op_sel_hi:[1,0] neg_lo:[0,1] neg_hi:[0,1]
	v_pk_add_f32 v[14:15], v[30:31], v[26:27] op_sel:[0,1] op_sel_hi:[1,0]
	v_pk_add_f32 v[0:1], v[0:1], v[26:27] op_sel:[0,1] op_sel_hi:[1,0] neg_lo:[0,1] neg_hi:[0,1]
	v_mov_b32_e32 v26, v14
	v_mov_b32_e32 v27, v1
	v_pk_fma_f32 v[26:27], v[28:29], s[2:3], v[26:27] op_sel_hi:[1,0,1]
	ds_write_b64 v125, v[26:27] offset:3136
	v_pk_add_f32 v[26:27], v[18:19], v[24:25]
	v_pk_add_f32 v[18:19], v[20:21], v[18:19] neg_lo:[0,1] neg_hi:[0,1]
	v_pk_fma_f32 v[26:27], v[26:27], 0.5, v[72:73] op_sel_hi:[1,0,1] neg_lo:[1,0,0] neg_hi:[1,0,0]
	v_pk_add_f32 v[20:21], v[22:23], v[24:25] neg_lo:[0,1] neg_hi:[0,1]
	v_pk_mul_f32 v[16:17], v[16:17], s[4:5] op_sel_hi:[1,0]
	v_pk_add_f32 v[18:19], v[18:19], v[20:21]
	v_pk_mul_f32 v[2:3], v[2:3], s[8:9] op_sel_hi:[1,0]
	v_pk_add_f32 v[20:21], v[26:27], v[16:17] op_sel:[0,1] op_sel_hi:[1,0] neg_lo:[0,1] neg_hi:[0,1]
	v_pk_add_f32 v[16:17], v[26:27], v[16:17] op_sel:[0,1] op_sel_hi:[1,0]
	v_mov_b32_e32 v5, v7
	v_pk_add_f32 v[6:7], v[70:71], v[12:13]
	v_pk_add_f32 v[16:17], v[16:17], v[2:3] op_sel:[0,1] op_sel_hi:[1,0] neg_lo:[0,1] neg_hi:[0,1]
	v_pk_add_f32 v[2:3], v[20:21], v[2:3] op_sel:[0,1] op_sel_hi:[1,0]
	v_pk_add_f32 v[6:7], v[6:7], v[8:9]
	v_mov_b32_e32 v20, v2
	v_mov_b32_e32 v21, v17
	;; [unrolled: 1-line block ×4, first 2 shown]
	v_pk_add_f32 v[6:7], v[6:7], v[10:11]
	v_pk_fma_f32 v[20:21], v[18:19], s[2:3], v[20:21] op_sel_hi:[1,0,1]
	v_pk_fma_f32 v[2:3], v[18:19], s[2:3], v[16:17] op_sel_hi:[1,0,1]
	;; [unrolled: 1-line block ×3, first 2 shown]
	v_pk_add_f32 v[6:7], v[6:7], v[4:5]
	ds_write_b64 v125, v[20:21] offset:6272
	ds_write_b64 v125, v[2:3] offset:9408
	;; [unrolled: 1-line block ×3, first 2 shown]
	ds_write_b64 v67, v[6:7]
	v_pk_add_f32 v[0:1], v[8:9], v[10:11]
	v_pk_add_f32 v[2:3], v[12:13], v[4:5] neg_lo:[0,1] neg_hi:[0,1]
	v_pk_fma_f32 v[0:1], v[0:1], 0.5, v[70:71] op_sel_hi:[1,0,1] neg_lo:[1,0,0] neg_hi:[1,0,0]
	v_pk_mul_f32 v[6:7], v[2:3], s[4:5] op_sel_hi:[1,0]
	v_pk_add_f32 v[14:15], v[8:9], v[10:11] neg_lo:[0,1] neg_hi:[0,1]
	v_pk_add_f32 v[18:19], v[12:13], v[8:9] neg_lo:[0,1] neg_hi:[0,1]
	;; [unrolled: 1-line block ×3, first 2 shown]
	v_pk_mul_f32 v[16:17], v[14:15], s[8:9] op_sel_hi:[1,0]
	v_pk_add_f32 v[18:19], v[18:19], v[20:21]
	v_pk_add_f32 v[20:21], v[0:1], v[6:7] op_sel:[0,1] op_sel_hi:[1,0]
	v_pk_add_f32 v[0:1], v[0:1], v[6:7] op_sel:[0,1] op_sel_hi:[1,0] neg_lo:[0,1] neg_hi:[0,1]
	v_pk_add_f32 v[6:7], v[20:21], v[16:17] op_sel:[0,1] op_sel_hi:[1,0]
	v_pk_add_f32 v[0:1], v[0:1], v[16:17] op_sel:[0,1] op_sel_hi:[1,0] neg_lo:[0,1] neg_hi:[0,1]
	v_mov_b32_e32 v16, v6
	v_mov_b32_e32 v17, v1
	v_pk_fma_f32 v[16:17], v[18:19], s[2:3], v[16:17] op_sel_hi:[1,0,1]
	ds_write_b64 v67, v[16:17] offset:3136
	v_pk_add_f32 v[16:17], v[12:13], v[4:5]
	v_pk_add_f32 v[8:9], v[8:9], v[12:13] neg_lo:[0,1] neg_hi:[0,1]
	v_pk_add_f32 v[4:5], v[10:11], v[4:5] neg_lo:[0,1] neg_hi:[0,1]
	v_pk_fma_f32 v[16:17], v[16:17], 0.5, v[70:71] op_sel_hi:[1,0,1] neg_lo:[1,0,0] neg_hi:[1,0,0]
	v_pk_add_f32 v[4:5], v[8:9], v[4:5]
	v_pk_mul_f32 v[8:9], v[14:15], s[4:5] op_sel_hi:[1,0]
	v_pk_mul_f32 v[2:3], v[2:3], s[8:9] op_sel_hi:[1,0]
	v_pk_add_f32 v[10:11], v[16:17], v[8:9] op_sel:[0,1] op_sel_hi:[1,0] neg_lo:[0,1] neg_hi:[0,1]
	v_pk_add_f32 v[8:9], v[16:17], v[8:9] op_sel:[0,1] op_sel_hi:[1,0]
	v_mov_b32_e32 v1, v7
	v_pk_add_f32 v[8:9], v[8:9], v[2:3] op_sel:[0,1] op_sel_hi:[1,0] neg_lo:[0,1] neg_hi:[0,1]
	v_pk_add_f32 v[2:3], v[10:11], v[2:3] op_sel:[0,1] op_sel_hi:[1,0]
	v_mov_b32_e32 v11, v9
	v_mov_b32_e32 v10, v2
	;; [unrolled: 1-line block ×3, first 2 shown]
	v_pk_fma_f32 v[10:11], v[4:5], s[2:3], v[10:11] op_sel_hi:[1,0,1]
	v_pk_fma_f32 v[2:3], v[4:5], s[2:3], v[8:9] op_sel_hi:[1,0,1]
	;; [unrolled: 1-line block ×3, first 2 shown]
	ds_write_b64 v67, v[10:11] offset:6272
	ds_write_b64 v67, v[2:3] offset:9408
	;; [unrolled: 1-line block ×3, first 2 shown]
	s_waitcnt lgkmcnt(0)
	; wave barrier
	s_waitcnt lgkmcnt(0)
	s_and_saveexec_b64 s[2:3], s[0:1]
	s_cbranch_execz .LBB0_29
; %bb.28:
	v_mul_lo_u32 v2, s11, v68
	v_mul_lo_u32 v3, s10, v69
	v_mad_u64_u32 v[0:1], s[0:1], s10, v68, 0
	v_lshl_add_u32 v10, v66, 3, 0
	v_add3_u32 v1, v1, v3, v2
	ds_read2_b64 v[2:5], v10 offset1:56
	v_lshl_add_u64 v[0:1], v[0:1], 3, s[6:7]
	v_mov_b32_e32 v67, 0
	v_lshl_add_u64 v[0:1], v[64:65], 3, v[0:1]
	v_lshl_add_u64 v[6:7], v[66:67], 3, v[0:1]
	s_waitcnt lgkmcnt(0)
	global_store_dwordx2 v[6:7], v[2:3], off
	ds_read2_b64 v[6:9], v10 offset0:112 offset1:168
	v_add_u32_e32 v2, 56, v66
	v_mov_b32_e32 v3, v67
	v_lshl_add_u64 v[2:3], v[2:3], 3, v[0:1]
	global_store_dwordx2 v[2:3], v[4:5], off
	v_add_u32_e32 v2, 0x70, v66
	v_mov_b32_e32 v3, v67
	v_lshl_add_u64 v[2:3], v[2:3], 3, v[0:1]
	s_waitcnt lgkmcnt(0)
	global_store_dwordx2 v[2:3], v[6:7], off
	v_add_u32_e32 v2, 0xa8, v66
	v_mov_b32_e32 v3, v67
	v_lshl_add_u64 v[6:7], v[2:3], 3, v[0:1]
	v_add_u32_e32 v2, 0x400, v10
	ds_read2_b64 v[2:5], v2 offset0:96 offset1:152
	global_store_dwordx2 v[6:7], v[8:9], off
	v_add_u32_e32 v6, 0xe0, v66
	v_mov_b32_e32 v7, v67
	v_lshl_add_u64 v[6:7], v[6:7], 3, v[0:1]
	v_add_u32_e32 v11, 0x800, v10
	s_waitcnt lgkmcnt(0)
	global_store_dwordx2 v[6:7], v[2:3], off
	ds_read2_b64 v[6:9], v11 offset0:80 offset1:136
	v_add_u32_e32 v2, 0x118, v66
	v_mov_b32_e32 v3, v67
	v_lshl_add_u64 v[2:3], v[2:3], 3, v[0:1]
	global_store_dwordx2 v[2:3], v[4:5], off
	v_add_u32_e32 v2, 0x150, v66
	v_mov_b32_e32 v3, v67
	v_lshl_add_u64 v[2:3], v[2:3], 3, v[0:1]
	s_waitcnt lgkmcnt(0)
	global_store_dwordx2 v[2:3], v[6:7], off
	v_add_u32_e32 v2, 0x188, v66
	v_mov_b32_e32 v3, v67
	v_lshl_add_u64 v[6:7], v[2:3], 3, v[0:1]
	ds_read2_b64 v[2:5], v11 offset0:192 offset1:248
	global_store_dwordx2 v[6:7], v[8:9], off
	v_add_u32_e32 v6, 0x1c0, v66
	v_mov_b32_e32 v7, v67
	v_lshl_add_u64 v[6:7], v[6:7], 3, v[0:1]
	v_add_u32_e32 v11, 0x1000, v10
	s_waitcnt lgkmcnt(0)
	global_store_dwordx2 v[6:7], v[2:3], off
	ds_read2_b64 v[6:9], v11 offset0:48 offset1:104
	v_add_u32_e32 v2, 0x1f8, v66
	v_mov_b32_e32 v3, v67
	v_lshl_add_u64 v[2:3], v[2:3], 3, v[0:1]
	global_store_dwordx2 v[2:3], v[4:5], off
	v_add_u32_e32 v2, 0x230, v66
	v_mov_b32_e32 v3, v67
	v_lshl_add_u64 v[2:3], v[2:3], 3, v[0:1]
	s_waitcnt lgkmcnt(0)
	global_store_dwordx2 v[2:3], v[6:7], off
	v_add_u32_e32 v2, 0x268, v66
	v_mov_b32_e32 v3, v67
	v_lshl_add_u64 v[6:7], v[2:3], 3, v[0:1]
	;; [unrolled: 21-line block ×3, first 2 shown]
	ds_read2_b64 v[2:5], v11 offset0:128 offset1:184
	global_store_dwordx2 v[6:7], v[8:9], off
	v_add_u32_e32 v6, 0x380, v66
	v_mov_b32_e32 v7, v67
	v_lshl_add_u64 v[6:7], v[6:7], 3, v[0:1]
	s_waitcnt lgkmcnt(0)
	global_store_dwordx2 v[6:7], v[2:3], off
	v_add_u32_e32 v6, 0x1c00, v10
	ds_read2_b64 v[6:9], v6 offset0:112 offset1:168
	v_add_u32_e32 v2, 0x3b8, v66
	v_mov_b32_e32 v3, v67
	v_lshl_add_u64 v[2:3], v[2:3], 3, v[0:1]
	global_store_dwordx2 v[2:3], v[4:5], off
	v_add_u32_e32 v2, 0x3f0, v66
	v_mov_b32_e32 v3, v67
	v_lshl_add_u64 v[2:3], v[2:3], 3, v[0:1]
	s_waitcnt lgkmcnt(0)
	global_store_dwordx2 v[2:3], v[6:7], off
	v_add_u32_e32 v2, 0x428, v66
	v_mov_b32_e32 v3, v67
	v_lshl_add_u64 v[6:7], v[2:3], 3, v[0:1]
	v_add_u32_e32 v2, 0x2000, v10
	ds_read2_b64 v[2:5], v2 offset0:96 offset1:152
	global_store_dwordx2 v[6:7], v[8:9], off
	v_add_u32_e32 v6, 0x460, v66
	v_mov_b32_e32 v7, v67
	v_lshl_add_u64 v[6:7], v[6:7], 3, v[0:1]
	s_waitcnt lgkmcnt(0)
	global_store_dwordx2 v[6:7], v[2:3], off
	v_add_u32_e32 v6, 0x2400, v10
	ds_read2_b64 v[6:9], v6 offset0:80 offset1:136
	v_add_u32_e32 v2, 0x498, v66
	v_mov_b32_e32 v3, v67
	v_lshl_add_u64 v[2:3], v[2:3], 3, v[0:1]
	global_store_dwordx2 v[2:3], v[4:5], off
	v_add_u32_e32 v2, 0x4d0, v66
	v_mov_b32_e32 v3, v67
	v_lshl_add_u64 v[2:3], v[2:3], 3, v[0:1]
	s_waitcnt lgkmcnt(0)
	global_store_dwordx2 v[2:3], v[6:7], off
	v_add_u32_e32 v2, 0x508, v66
	v_mov_b32_e32 v3, v67
	v_add_u32_e32 v11, 0x2800, v10
	v_lshl_add_u64 v[6:7], v[2:3], 3, v[0:1]
	ds_read2_b64 v[2:5], v11 offset0:64 offset1:120
	global_store_dwordx2 v[6:7], v[8:9], off
	v_add_u32_e32 v6, 0x540, v66
	v_mov_b32_e32 v7, v67
	v_lshl_add_u64 v[6:7], v[6:7], 3, v[0:1]
	s_waitcnt lgkmcnt(0)
	global_store_dwordx2 v[6:7], v[2:3], off
	ds_read2_b64 v[6:9], v11 offset0:176 offset1:232
	v_add_u32_e32 v2, 0x578, v66
	v_mov_b32_e32 v3, v67
	v_lshl_add_u64 v[2:3], v[2:3], 3, v[0:1]
	global_store_dwordx2 v[2:3], v[4:5], off
	v_add_u32_e32 v2, 0x5b0, v66
	v_mov_b32_e32 v3, v67
	v_lshl_add_u64 v[2:3], v[2:3], 3, v[0:1]
	s_waitcnt lgkmcnt(0)
	global_store_dwordx2 v[2:3], v[6:7], off
	v_add_u32_e32 v2, 0x5e8, v66
	v_mov_b32_e32 v3, v67
	v_add_u32_e32 v11, 0x3000, v10
	v_lshl_add_u64 v[6:7], v[2:3], 3, v[0:1]
	ds_read2_b64 v[2:5], v11 offset0:32 offset1:88
	global_store_dwordx2 v[6:7], v[8:9], off
	v_add_u32_e32 v6, 0x620, v66
	v_mov_b32_e32 v7, v67
	v_lshl_add_u64 v[6:7], v[6:7], 3, v[0:1]
	s_waitcnt lgkmcnt(0)
	global_store_dwordx2 v[6:7], v[2:3], off
	ds_read2_b64 v[6:9], v11 offset0:144 offset1:200
	v_add_u32_e32 v2, 0x658, v66
	v_mov_b32_e32 v3, v67
	v_lshl_add_u64 v[2:3], v[2:3], 3, v[0:1]
	global_store_dwordx2 v[2:3], v[4:5], off
	v_add_u32_e32 v2, 0x690, v66
	v_mov_b32_e32 v3, v67
	v_lshl_add_u64 v[2:3], v[2:3], 3, v[0:1]
	s_waitcnt lgkmcnt(0)
	global_store_dwordx2 v[2:3], v[6:7], off
	v_add_u32_e32 v2, 0x6c8, v66
	v_mov_b32_e32 v3, v67
	v_lshl_add_u64 v[6:7], v[2:3], 3, v[0:1]
	v_add_u32_e32 v2, 0x3800, v10
	ds_read2_b64 v[2:5], v2 offset1:56
	global_store_dwordx2 v[6:7], v[8:9], off
	v_add_u32_e32 v6, 0x700, v66
	v_mov_b32_e32 v7, v67
	v_lshl_add_u64 v[6:7], v[6:7], 3, v[0:1]
	s_waitcnt lgkmcnt(0)
	global_store_dwordx2 v[6:7], v[2:3], off
	ds_read_b64 v[6:7], v10 offset:15232
	v_add_u32_e32 v2, 0x738, v66
	v_mov_b32_e32 v3, v67
	v_add_u32_e32 v66, 0x770, v66
	v_lshl_add_u64 v[2:3], v[2:3], 3, v[0:1]
	v_lshl_add_u64 v[0:1], v[66:67], 3, v[0:1]
	global_store_dwordx2 v[2:3], v[4:5], off
	s_waitcnt lgkmcnt(0)
	global_store_dwordx2 v[0:1], v[6:7], off
.LBB0_29:
	s_endpgm
	.section	.rodata,"a",@progbits
	.p2align	6, 0x0
	.amdhsa_kernel fft_rtc_fwd_len1960_factors_4_7_2_7_5_wgs_56_tpt_56_halfLds_sp_op_CI_CI_unitstride_sbrr_C2R_dirReg
		.amdhsa_group_segment_fixed_size 0
		.amdhsa_private_segment_fixed_size 0
		.amdhsa_kernarg_size 104
		.amdhsa_user_sgpr_count 2
		.amdhsa_user_sgpr_dispatch_ptr 0
		.amdhsa_user_sgpr_queue_ptr 0
		.amdhsa_user_sgpr_kernarg_segment_ptr 1
		.amdhsa_user_sgpr_dispatch_id 0
		.amdhsa_user_sgpr_kernarg_preload_length 0
		.amdhsa_user_sgpr_kernarg_preload_offset 0
		.amdhsa_user_sgpr_private_segment_size 0
		.amdhsa_uses_dynamic_stack 0
		.amdhsa_enable_private_segment 0
		.amdhsa_system_sgpr_workgroup_id_x 1
		.amdhsa_system_sgpr_workgroup_id_y 0
		.amdhsa_system_sgpr_workgroup_id_z 0
		.amdhsa_system_sgpr_workgroup_info 0
		.amdhsa_system_vgpr_workitem_id 0
		.amdhsa_next_free_vgpr 186
		.amdhsa_next_free_sgpr 28
		.amdhsa_accum_offset 188
		.amdhsa_reserve_vcc 1
		.amdhsa_float_round_mode_32 0
		.amdhsa_float_round_mode_16_64 0
		.amdhsa_float_denorm_mode_32 3
		.amdhsa_float_denorm_mode_16_64 3
		.amdhsa_dx10_clamp 1
		.amdhsa_ieee_mode 1
		.amdhsa_fp16_overflow 0
		.amdhsa_tg_split 0
		.amdhsa_exception_fp_ieee_invalid_op 0
		.amdhsa_exception_fp_denorm_src 0
		.amdhsa_exception_fp_ieee_div_zero 0
		.amdhsa_exception_fp_ieee_overflow 0
		.amdhsa_exception_fp_ieee_underflow 0
		.amdhsa_exception_fp_ieee_inexact 0
		.amdhsa_exception_int_div_zero 0
	.end_amdhsa_kernel
	.text
.Lfunc_end0:
	.size	fft_rtc_fwd_len1960_factors_4_7_2_7_5_wgs_56_tpt_56_halfLds_sp_op_CI_CI_unitstride_sbrr_C2R_dirReg, .Lfunc_end0-fft_rtc_fwd_len1960_factors_4_7_2_7_5_wgs_56_tpt_56_halfLds_sp_op_CI_CI_unitstride_sbrr_C2R_dirReg
                                        ; -- End function
	.section	.AMDGPU.csdata,"",@progbits
; Kernel info:
; codeLenInByte = 22168
; NumSgprs: 34
; NumVgprs: 186
; NumAgprs: 0
; TotalNumVgprs: 186
; ScratchSize: 0
; MemoryBound: 0
; FloatMode: 240
; IeeeMode: 1
; LDSByteSize: 0 bytes/workgroup (compile time only)
; SGPRBlocks: 4
; VGPRBlocks: 23
; NumSGPRsForWavesPerEU: 34
; NumVGPRsForWavesPerEU: 186
; AccumOffset: 188
; Occupancy: 2
; WaveLimiterHint : 1
; COMPUTE_PGM_RSRC2:SCRATCH_EN: 0
; COMPUTE_PGM_RSRC2:USER_SGPR: 2
; COMPUTE_PGM_RSRC2:TRAP_HANDLER: 0
; COMPUTE_PGM_RSRC2:TGID_X_EN: 1
; COMPUTE_PGM_RSRC2:TGID_Y_EN: 0
; COMPUTE_PGM_RSRC2:TGID_Z_EN: 0
; COMPUTE_PGM_RSRC2:TIDIG_COMP_CNT: 0
; COMPUTE_PGM_RSRC3_GFX90A:ACCUM_OFFSET: 46
; COMPUTE_PGM_RSRC3_GFX90A:TG_SPLIT: 0
	.text
	.p2alignl 6, 3212836864
	.fill 256, 4, 3212836864
	.type	__hip_cuid_2457dc79b8545532,@object ; @__hip_cuid_2457dc79b8545532
	.section	.bss,"aw",@nobits
	.globl	__hip_cuid_2457dc79b8545532
__hip_cuid_2457dc79b8545532:
	.byte	0                               ; 0x0
	.size	__hip_cuid_2457dc79b8545532, 1

	.ident	"AMD clang version 19.0.0git (https://github.com/RadeonOpenCompute/llvm-project roc-6.4.0 25133 c7fe45cf4b819c5991fe208aaa96edf142730f1d)"
	.section	".note.GNU-stack","",@progbits
	.addrsig
	.addrsig_sym __hip_cuid_2457dc79b8545532
	.amdgpu_metadata
---
amdhsa.kernels:
  - .agpr_count:     0
    .args:
      - .actual_access:  read_only
        .address_space:  global
        .offset:         0
        .size:           8
        .value_kind:     global_buffer
      - .offset:         8
        .size:           8
        .value_kind:     by_value
      - .actual_access:  read_only
        .address_space:  global
        .offset:         16
        .size:           8
        .value_kind:     global_buffer
      - .actual_access:  read_only
        .address_space:  global
        .offset:         24
        .size:           8
        .value_kind:     global_buffer
      - .actual_access:  read_only
        .address_space:  global
        .offset:         32
        .size:           8
        .value_kind:     global_buffer
      - .offset:         40
        .size:           8
        .value_kind:     by_value
      - .actual_access:  read_only
        .address_space:  global
        .offset:         48
        .size:           8
        .value_kind:     global_buffer
      - .actual_access:  read_only
        .address_space:  global
        .offset:         56
        .size:           8
        .value_kind:     global_buffer
      - .offset:         64
        .size:           4
        .value_kind:     by_value
      - .actual_access:  read_only
        .address_space:  global
        .offset:         72
        .size:           8
        .value_kind:     global_buffer
      - .actual_access:  read_only
        .address_space:  global
        .offset:         80
        .size:           8
        .value_kind:     global_buffer
      - .actual_access:  read_only
        .address_space:  global
        .offset:         88
        .size:           8
        .value_kind:     global_buffer
      - .actual_access:  write_only
        .address_space:  global
        .offset:         96
        .size:           8
        .value_kind:     global_buffer
    .group_segment_fixed_size: 0
    .kernarg_segment_align: 8
    .kernarg_segment_size: 104
    .language:       OpenCL C
    .language_version:
      - 2
      - 0
    .max_flat_workgroup_size: 56
    .name:           fft_rtc_fwd_len1960_factors_4_7_2_7_5_wgs_56_tpt_56_halfLds_sp_op_CI_CI_unitstride_sbrr_C2R_dirReg
    .private_segment_fixed_size: 0
    .sgpr_count:     34
    .sgpr_spill_count: 0
    .symbol:         fft_rtc_fwd_len1960_factors_4_7_2_7_5_wgs_56_tpt_56_halfLds_sp_op_CI_CI_unitstride_sbrr_C2R_dirReg.kd
    .uniform_work_group_size: 1
    .uses_dynamic_stack: false
    .vgpr_count:     186
    .vgpr_spill_count: 0
    .wavefront_size: 64
amdhsa.target:   amdgcn-amd-amdhsa--gfx950
amdhsa.version:
  - 1
  - 2
...

	.end_amdgpu_metadata
